;; amdgpu-corpus repo=ROCm/rocFFT kind=compiled arch=gfx1030 opt=O3
	.text
	.amdgcn_target "amdgcn-amd-amdhsa--gfx1030"
	.amdhsa_code_object_version 6
	.protected	fft_rtc_back_len289_factors_17_17_wgs_119_tpt_17_dp_ip_CI_sbcc_twdbase8_2step_dirReg_intrinsicReadWrite ; -- Begin function fft_rtc_back_len289_factors_17_17_wgs_119_tpt_17_dp_ip_CI_sbcc_twdbase8_2step_dirReg_intrinsicReadWrite
	.globl	fft_rtc_back_len289_factors_17_17_wgs_119_tpt_17_dp_ip_CI_sbcc_twdbase8_2step_dirReg_intrinsicReadWrite
	.p2align	8
	.type	fft_rtc_back_len289_factors_17_17_wgs_119_tpt_17_dp_ip_CI_sbcc_twdbase8_2step_dirReg_intrinsicReadWrite,@function
fft_rtc_back_len289_factors_17_17_wgs_119_tpt_17_dp_ip_CI_sbcc_twdbase8_2step_dirReg_intrinsicReadWrite: ; @fft_rtc_back_len289_factors_17_17_wgs_119_tpt_17_dp_ip_CI_sbcc_twdbase8_2step_dirReg_intrinsicReadWrite
; %bb.0:
	s_load_dwordx4 s[16:19], s[4:5], 0x18
	s_mov_b64 s[24:25], 0
	s_waitcnt lgkmcnt(0)
	s_load_dwordx2 s[2:3], s[16:17], 0x8
	s_waitcnt lgkmcnt(0)
	s_add_u32 s0, s2, -1
	s_addc_u32 s1, s3, -1
	s_add_u32 s7, 0, 0x92481000
	s_addc_u32 s8, 0, 0x64
	s_mul_hi_u32 s10, s7, -7
	s_add_i32 s8, s8, 0x249248c0
	s_sub_i32 s10, s10, s7
	s_mul_i32 s12, s8, -7
	s_mul_i32 s9, s7, -7
	s_add_i32 s10, s10, s12
	s_mul_hi_u32 s11, s7, s9
	s_mul_i32 s14, s7, s10
	s_mul_hi_u32 s12, s7, s10
	s_mul_hi_u32 s13, s8, s9
	s_mul_i32 s9, s8, s9
	s_add_u32 s11, s11, s14
	s_addc_u32 s12, 0, s12
	s_mul_hi_u32 s15, s8, s10
	s_add_u32 s9, s11, s9
	s_mul_i32 s10, s8, s10
	s_addc_u32 s9, s12, s13
	s_addc_u32 s11, s15, 0
	s_add_u32 s9, s9, s10
	v_add_co_u32 v1, s7, s7, s9
	s_addc_u32 s9, 0, s11
	s_cmp_lg_u32 s7, 0
	s_addc_u32 s7, s8, s9
	v_readfirstlane_b32 s8, v1
	s_mul_i32 s10, s0, s7
	s_mul_hi_u32 s9, s0, s7
	s_mul_hi_u32 s11, s1, s7
	s_mul_i32 s7, s1, s7
	s_mul_hi_u32 s12, s0, s8
	s_mul_hi_u32 s13, s1, s8
	s_mul_i32 s8, s1, s8
	s_add_u32 s10, s12, s10
	s_addc_u32 s9, 0, s9
	s_add_u32 s8, s10, s8
	s_addc_u32 s8, s9, s13
	s_addc_u32 s9, s11, 0
	s_add_u32 s8, s8, s7
	s_addc_u32 s9, 0, s9
	s_mul_i32 s10, s8, 7
	s_add_u32 s7, s8, 1
	v_sub_co_u32 v1, s0, s0, s10
	s_mul_hi_u32 s10, s8, 7
	s_addc_u32 s11, s9, 0
	s_mul_i32 s12, s9, 7
	v_sub_co_u32 v2, s13, v1, 7
	s_add_u32 s14, s8, 2
	s_addc_u32 s15, s9, 0
	s_add_i32 s10, s10, s12
	s_cmp_lg_u32 s0, 0
	v_readfirstlane_b32 s0, v2
	s_subb_u32 s1, s1, s10
	s_cmp_lg_u32 s13, 0
	s_subb_u32 s10, s1, 0
	s_cmp_gt_u32 s0, 6
	s_cselect_b32 s0, -1, 0
	s_cmp_eq_u32 s10, 0
	v_readfirstlane_b32 s10, v1
	s_cselect_b32 s0, s0, -1
	s_cmp_lg_u32 s0, 0
	s_cselect_b32 s0, s14, s7
	s_cselect_b32 s11, s15, s11
	s_cmp_gt_u32 s10, 6
	s_cselect_b32 s7, -1, 0
	s_cmp_eq_u32 s1, 0
	s_cselect_b32 s1, s7, -1
	s_mov_b32 s7, 0
	s_cmp_lg_u32 s1, 0
	s_cselect_b32 s0, s0, s8
	s_cselect_b32 s1, s11, s9
	s_add_u32 s22, s0, 1
	s_addc_u32 s23, s1, 0
	v_cmp_lt_u64_e64 s0, s[6:7], s[22:23]
	s_and_b32 vcc_lo, exec_lo, s0
	s_cbranch_vccnz .LBB0_2
; %bb.1:
	v_cvt_f32_u32_e32 v1, s22
	s_sub_i32 s1, 0, s22
	s_mov_b32 s25, s7
	v_rcp_iflag_f32_e32 v1, v1
	v_mul_f32_e32 v1, 0x4f7ffffe, v1
	v_cvt_u32_f32_e32 v1, v1
	v_readfirstlane_b32 s0, v1
	s_mul_i32 s1, s1, s0
	s_mul_hi_u32 s1, s0, s1
	s_add_i32 s0, s0, s1
	s_mul_hi_u32 s0, s6, s0
	s_mul_i32 s1, s0, s22
	s_add_i32 s8, s0, 1
	s_sub_i32 s1, s6, s1
	s_sub_i32 s9, s1, s22
	s_cmp_ge_u32 s1, s22
	s_cselect_b32 s0, s8, s0
	s_cselect_b32 s1, s9, s1
	s_add_i32 s8, s0, 1
	s_cmp_ge_u32 s1, s22
	s_cselect_b32 s24, s8, s0
.LBB0_2:
	s_load_dwordx4 s[8:11], s[18:19], 0x0
	s_clause 0x2
	s_load_dwordx4 s[12:15], s[4:5], 0x8
	s_load_dwordx2 s[20:21], s[4:5], 0x0
	s_load_dwordx2 s[0:1], s[4:5], 0x58
	s_mul_i32 s4, s24, s23
	s_mul_hi_u32 s5, s24, s22
	s_waitcnt lgkmcnt(0)
	s_mul_i32 s9, s24, s22
	s_add_i32 s5, s5, s4
	s_sub_u32 s33, s6, s9
	s_subb_u32 s4, 0, s5
	s_mul_hi_u32 s9, s33, 7
	s_mul_i32 s4, s4, 7
	s_mul_i32 s33, s33, 7
	s_add_i32 s9, s9, s4
	s_mul_i32 s4, s10, s9
	v_cmp_lt_u64_e64 s5, s[14:15], 3
	s_mul_hi_u32 s26, s10, s33
	s_mul_i32 s11, s11, s33
	s_add_i32 s4, s26, s4
	s_add_i32 s36, s4, s11
	s_and_b32 vcc_lo, exec_lo, s5
	s_mul_i32 s11, s10, s33
	s_cbranch_vccnz .LBB0_10
; %bb.3:
	s_add_u32 s4, s18, 16
	s_addc_u32 s5, s19, 0
	s_add_u32 s16, s16, 16
	s_addc_u32 s17, s17, 0
	s_mov_b64 s[26:27], 2
	s_mov_b32 s28, 0
.LBB0_4:                                ; =>This Inner Loop Header: Depth=1
	s_load_dwordx2 s[30:31], s[16:17], 0x0
	s_waitcnt lgkmcnt(0)
	s_or_b64 s[34:35], s[24:25], s[30:31]
	s_mov_b32 s29, s35
                                        ; implicit-def: $sgpr34_sgpr35
	s_cmp_lg_u64 s[28:29], 0
	s_mov_b32 s29, -1
	s_cbranch_scc0 .LBB0_6
; %bb.5:                                ;   in Loop: Header=BB0_4 Depth=1
	v_cvt_f32_u32_e32 v1, s30
	v_cvt_f32_u32_e32 v2, s31
	s_sub_u32 s35, 0, s30
	s_subb_u32 s37, 0, s31
	v_fmac_f32_e32 v1, 0x4f800000, v2
	v_rcp_f32_e32 v1, v1
	v_mul_f32_e32 v1, 0x5f7ffffc, v1
	v_mul_f32_e32 v2, 0x2f800000, v1
	v_trunc_f32_e32 v2, v2
	v_fmac_f32_e32 v1, 0xcf800000, v2
	v_cvt_u32_f32_e32 v2, v2
	v_cvt_u32_f32_e32 v1, v1
	v_readfirstlane_b32 s29, v2
	v_readfirstlane_b32 s34, v1
	s_mul_i32 s38, s35, s29
	s_mul_hi_u32 s40, s35, s34
	s_mul_i32 s39, s37, s34
	s_add_i32 s38, s40, s38
	s_mul_i32 s41, s35, s34
	s_add_i32 s38, s38, s39
	s_mul_hi_u32 s40, s34, s41
	s_mul_hi_u32 s42, s29, s41
	s_mul_i32 s39, s29, s41
	s_mul_hi_u32 s41, s34, s38
	s_mul_i32 s34, s34, s38
	s_mul_hi_u32 s43, s29, s38
	s_add_u32 s34, s40, s34
	s_addc_u32 s40, 0, s41
	s_add_u32 s34, s34, s39
	s_mul_i32 s38, s29, s38
	s_addc_u32 s34, s40, s42
	s_addc_u32 s39, s43, 0
	s_add_u32 s34, s34, s38
	s_addc_u32 s38, 0, s39
	v_add_co_u32 v1, s34, v1, s34
	s_cmp_lg_u32 s34, 0
	s_addc_u32 s29, s29, s38
	v_readfirstlane_b32 s34, v1
	s_mul_i32 s38, s35, s29
	s_mul_hi_u32 s39, s35, s34
	s_mul_i32 s37, s37, s34
	s_add_i32 s38, s39, s38
	s_mul_i32 s35, s35, s34
	s_add_i32 s38, s38, s37
	s_mul_hi_u32 s39, s29, s35
	s_mul_i32 s40, s29, s35
	s_mul_hi_u32 s35, s34, s35
	s_mul_hi_u32 s41, s34, s38
	s_mul_i32 s34, s34, s38
	s_mul_hi_u32 s37, s29, s38
	s_add_u32 s34, s35, s34
	s_addc_u32 s35, 0, s41
	s_add_u32 s34, s34, s40
	s_mul_i32 s38, s29, s38
	s_addc_u32 s34, s35, s39
	s_addc_u32 s35, s37, 0
	s_add_u32 s34, s34, s38
	s_addc_u32 s35, 0, s35
	v_add_co_u32 v1, s34, v1, s34
	s_cmp_lg_u32 s34, 0
	s_addc_u32 s29, s29, s35
	v_readfirstlane_b32 s34, v1
	s_mul_i32 s37, s24, s29
	s_mul_hi_u32 s35, s24, s29
	s_mul_hi_u32 s38, s25, s29
	s_mul_i32 s29, s25, s29
	s_mul_hi_u32 s39, s24, s34
	s_mul_hi_u32 s40, s25, s34
	s_mul_i32 s34, s25, s34
	s_add_u32 s37, s39, s37
	s_addc_u32 s35, 0, s35
	s_add_u32 s34, s37, s34
	s_addc_u32 s34, s35, s40
	s_addc_u32 s35, s38, 0
	s_add_u32 s34, s34, s29
	s_addc_u32 s35, 0, s35
	s_mul_hi_u32 s29, s30, s34
	s_mul_i32 s38, s30, s35
	s_mul_i32 s39, s30, s34
	s_add_i32 s29, s29, s38
	v_sub_co_u32 v1, s38, s24, s39
	s_mul_i32 s37, s31, s34
	s_add_i32 s29, s29, s37
	v_sub_co_u32 v2, s39, v1, s30
	s_sub_i32 s37, s25, s29
	s_cmp_lg_u32 s38, 0
	s_subb_u32 s37, s37, s31
	s_cmp_lg_u32 s39, 0
	v_readfirstlane_b32 s39, v2
	s_subb_u32 s37, s37, 0
	s_cmp_ge_u32 s37, s31
	s_cselect_b32 s40, -1, 0
	s_cmp_ge_u32 s39, s30
	s_cselect_b32 s39, -1, 0
	s_cmp_eq_u32 s37, s31
	s_cselect_b32 s37, s39, s40
	s_add_u32 s39, s34, 1
	s_addc_u32 s40, s35, 0
	s_add_u32 s41, s34, 2
	s_addc_u32 s42, s35, 0
	s_cmp_lg_u32 s37, 0
	s_cselect_b32 s37, s41, s39
	s_cselect_b32 s39, s42, s40
	s_cmp_lg_u32 s38, 0
	v_readfirstlane_b32 s38, v1
	s_subb_u32 s29, s25, s29
	s_cmp_ge_u32 s29, s31
	s_cselect_b32 s40, -1, 0
	s_cmp_ge_u32 s38, s30
	s_cselect_b32 s38, -1, 0
	s_cmp_eq_u32 s29, s31
	s_cselect_b32 s29, s38, s40
	s_cmp_lg_u32 s29, 0
	s_mov_b32 s29, 0
	s_cselect_b32 s35, s39, s35
	s_cselect_b32 s34, s37, s34
.LBB0_6:                                ;   in Loop: Header=BB0_4 Depth=1
	s_andn2_b32 vcc_lo, exec_lo, s29
	s_cbranch_vccnz .LBB0_8
; %bb.7:                                ;   in Loop: Header=BB0_4 Depth=1
	v_cvt_f32_u32_e32 v1, s30
	s_sub_i32 s34, 0, s30
	v_rcp_iflag_f32_e32 v1, v1
	v_mul_f32_e32 v1, 0x4f7ffffe, v1
	v_cvt_u32_f32_e32 v1, v1
	v_readfirstlane_b32 s29, v1
	s_mul_i32 s34, s34, s29
	s_mul_hi_u32 s34, s29, s34
	s_add_i32 s29, s29, s34
	s_mul_hi_u32 s29, s24, s29
	s_mul_i32 s34, s29, s30
	s_add_i32 s35, s29, 1
	s_sub_i32 s34, s24, s34
	s_sub_i32 s37, s34, s30
	s_cmp_ge_u32 s34, s30
	s_cselect_b32 s29, s35, s29
	s_cselect_b32 s34, s37, s34
	s_add_i32 s35, s29, 1
	s_cmp_ge_u32 s34, s30
	s_cselect_b32 s34, s35, s29
	s_mov_b32 s35, s28
.LBB0_8:                                ;   in Loop: Header=BB0_4 Depth=1
	s_load_dwordx2 s[38:39], s[4:5], 0x0
	s_mul_i32 s23, s30, s23
	s_mul_hi_u32 s29, s30, s22
	s_mul_i32 s37, s31, s22
	s_mul_i32 s31, s34, s31
	s_mul_hi_u32 s40, s34, s30
	s_mul_i32 s41, s35, s30
	s_add_i32 s23, s29, s23
	s_add_i32 s29, s40, s31
	s_mul_i32 s42, s34, s30
	s_add_i32 s23, s23, s37
	s_add_i32 s29, s29, s41
	s_sub_u32 s24, s24, s42
	s_subb_u32 s25, s25, s29
	s_mul_i32 s22, s30, s22
	s_waitcnt lgkmcnt(0)
	s_mul_i32 s25, s38, s25
	s_mul_hi_u32 s29, s38, s24
	s_add_i32 s25, s29, s25
	s_mul_i32 s29, s39, s24
	s_mul_i32 s24, s38, s24
	s_add_i32 s25, s25, s29
	s_add_u32 s11, s24, s11
	s_addc_u32 s36, s25, s36
	s_add_u32 s26, s26, 1
	s_addc_u32 s27, s27, 0
	s_add_u32 s4, s4, 8
	v_cmp_ge_u64_e64 s24, s[26:27], s[14:15]
	s_addc_u32 s5, s5, 0
	s_add_u32 s16, s16, 8
	s_addc_u32 s17, s17, 0
	s_and_b32 vcc_lo, exec_lo, s24
	s_cbranch_vccnz .LBB0_11
; %bb.9:                                ;   in Loop: Header=BB0_4 Depth=1
	s_mov_b64 s[24:25], s[34:35]
	s_branch .LBB0_4
.LBB0_10:
	v_mov_b32_e32 v1, s24
	v_mov_b32_e32 v2, s25
	s_branch .LBB0_13
.LBB0_11:
	v_cmp_lt_u64_e64 s4, s[6:7], s[22:23]
	v_mov_b32_e32 v1, 0
	v_mov_b32_e32 v2, 0
	s_and_b32 vcc_lo, exec_lo, s4
	s_cbranch_vccnz .LBB0_13
; %bb.12:
	v_cvt_f32_u32_e32 v1, s22
	s_sub_i32 s4, 0, s22
	v_rcp_iflag_f32_e32 v1, v1
	v_mul_f32_e32 v1, 0x4f7ffffe, v1
	v_cvt_u32_f32_e32 v1, v1
	v_mul_lo_u32 v2, s4, v1
	v_mul_hi_u32 v2, v1, v2
	v_add_nc_u32_e32 v1, v1, v2
	v_mul_hi_u32 v1, s6, v1
	v_mul_lo_u32 v2, v1, s22
	v_add_nc_u32_e32 v3, 1, v1
	v_sub_nc_u32_e32 v2, s6, v2
	v_subrev_nc_u32_e32 v4, s22, v2
	v_cmp_le_u32_e32 vcc_lo, s22, v2
	v_cndmask_b32_e32 v2, v2, v4, vcc_lo
	v_cndmask_b32_e32 v1, v1, v3, vcc_lo
	v_cmp_le_u32_e32 vcc_lo, s22, v2
	v_add_nc_u32_e32 v3, 1, v1
	v_cndmask_b32_e32 v1, v1, v3, vcc_lo
.LBB0_13:
	s_lshl_b64 s[4:5], s[14:15], 3
	v_mul_u32_u24_e32 v2, 0x2493, v0
	s_add_u32 s4, s18, s4
	s_addc_u32 s5, s19, s5
	s_mov_b32 s28, 0x5d8e7cdc
	s_load_dword s4, s[4:5], 0x0
	v_lshrrev_b32_e32 v87, 16, v2
	s_mov_b32 s22, 0x2a9d6da3
	s_mov_b32 s14, 0x7c9e640b
	;; [unrolled: 1-line block ×4, first 2 shown]
	v_mul_lo_u16 v2, v87, 7
	s_mov_b32 s48, 0x4363dd80
	s_mov_b32 s54, 0xacd6c6b4
	;; [unrolled: 1-line block ×4, first 2 shown]
	v_sub_nc_u16 v2, v0, v2
	s_mov_b32 s15, 0xbfeca52d
	s_mov_b32 s37, 0xbfeec746
	;; [unrolled: 1-line block ×4, first 2 shown]
	v_and_b32_e32 v88, 0xffff, v2
	v_mul_lo_u32 v2, s8, v87
	s_mov_b32 s55, 0xbfc7851a
	s_mov_b32 s30, 0x370991
	s_waitcnt lgkmcnt(0)
	v_mul_lo_u32 v1, s4, v1
	v_add_co_u32 v69, s4, s33, v88
	v_add_co_ci_u32_e64 v70, null, s9, 0, s4
	s_add_u32 s4, s33, 7
	s_addc_u32 s5, s9, 0
	v_mul_lo_u32 v86, s10, v88
	v_add_nc_u32_e32 v1, s11, v1
	v_cmp_le_u64_e64 s4, s[4:5], s[2:3]
	v_cmp_gt_u64_e32 vcc_lo, s[2:3], v[69:70]
	s_mov_b32 s3, 0x31014000
	s_mov_b32 s2, -2
	v_lshlrev_b32_e32 v1, 4, v1
	s_mov_b32 s24, 0x75d4884
	v_add_lshl_u32 v2, v86, v2, 4
	s_or_b32 vcc_lo, s4, vcc_lo
	s_mov_b32 s4, 0xeb564b22
	v_readfirstlane_b32 s9, v1
	v_add_nc_u32_e32 v1, 17, v87
	v_cndmask_b32_e32 v2, -1, v2, vcc_lo
	s_mov_b32 s5, 0xbfefdd0d
	s_mov_b32 s16, 0x2b2883cd
	;; [unrolled: 1-line block ×3, first 2 shown]
	v_mul_lo_u32 v1, s8, v1
	buffer_load_dwordx4 v[41:44], v2, s[0:3], s9 offen
	s_mov_b32 s38, 0xc61f0d01
	s_mov_b32 s44, 0x6ed5f1bb
	;; [unrolled: 1-line block ×6, first 2 shown]
	v_add_lshl_u32 v1, v86, v1, 4
	s_mov_b32 s17, 0x3fdc86fa
	s_mov_b32 s7, 0x3fb79ee6
	;; [unrolled: 1-line block ×4, first 2 shown]
	v_cndmask_b32_e32 v1, -1, v1, vcc_lo
	s_mov_b32 s51, 0xbfeb34fa
	s_mov_b32 s57, 0xbfef7484
	;; [unrolled: 1-line block ×4, first 2 shown]
	buffer_load_dwordx4 v[61:64], v1, s[0:3], s9 offen
	v_add_nc_u32_e32 v1, 34, v87
	s_mov_b32 s27, 0x3fe58eea
	s_mov_b32 s26, s22
	;; [unrolled: 1-line block ×4, first 2 shown]
	v_mul_lo_u32 v1, s8, v1
	s_mov_b32 s11, 0x3fefdd0d
	s_mov_b32 s10, s4
	s_mov_b32 s41, 0x3feec746
	s_mov_b32 s40, s36
	s_mov_b32 s47, 0x3fe9895b
	s_mov_b32 s46, s42
	s_mov_b32 s53, 0x3fe0d888
	v_add_lshl_u32 v1, v86, v1, 4
	s_mov_b32 s52, s48
	s_mov_b32 s59, 0x3fc7851a
	;; [unrolled: 1-line block ×3, first 2 shown]
	v_mul_u32_u24_e32 v0, 0x227, v0
	v_cndmask_b32_e32 v1, -1, v1, vcc_lo
	v_lshrrev_b32_e32 v0, 16, v0
	buffer_load_dwordx4 v[57:60], v1, s[0:3], s9 offen
	v_add_nc_u32_e32 v1, 51, v87
	v_mul_lo_u16 v0, 0x121, v0
	v_mul_lo_u32 v1, s8, v1
	v_add_lshl_u32 v1, v86, v1, 4
	v_cndmask_b32_e32 v1, -1, v1, vcc_lo
	buffer_load_dwordx4 v[49:52], v1, s[0:3], s9 offen
	v_add_nc_u32_e32 v1, 0x44, v87
	v_mul_lo_u32 v1, s8, v1
	v_add_lshl_u32 v1, v86, v1, 4
	v_cndmask_b32_e32 v1, -1, v1, vcc_lo
	buffer_load_dwordx4 v[37:40], v1, s[0:3], s9 offen
	v_add_nc_u32_e32 v1, 0x55, v87
	;; [unrolled: 5-line block ×12, first 2 shown]
	v_mul_lo_u32 v1, s8, v1
	s_waitcnt vmcnt(13)
	v_add_f64 v[3:4], v[43:44], v[63:64]
	v_add_lshl_u32 v1, v86, v1, 4
	v_cndmask_b32_e32 v1, -1, v1, vcc_lo
	buffer_load_dwordx4 v[65:68], v1, s[0:3], s9 offen
	v_add_nc_u32_e32 v1, 0x110, v87
	v_mul_lo_u32 v1, s8, v1
	s_waitcnt vmcnt(13)
	v_add_f64 v[3:4], v[3:4], v[59:60]
	v_add_lshl_u32 v1, v86, v1, 4
	v_cndmask_b32_e32 v1, -1, v1, vcc_lo
	buffer_load_dwordx4 v[70:73], v1, s[0:3], s9 offen
	v_add_f64 v[1:2], v[41:42], v[61:62]
	s_waitcnt vmcnt(13)
	v_add_f64 v[3:4], v[3:4], v[51:52]
	v_add_f64 v[1:2], v[1:2], v[57:58]
	s_waitcnt vmcnt(12)
	v_add_f64 v[3:4], v[3:4], v[39:40]
	v_add_f64 v[1:2], v[1:2], v[49:50]
	s_waitcnt vmcnt(11)
	v_add_f64 v[3:4], v[3:4], v[31:32]
	v_add_f64 v[1:2], v[1:2], v[37:38]
	s_waitcnt vmcnt(10)
	v_add_f64 v[3:4], v[3:4], v[23:24]
	v_add_f64 v[1:2], v[1:2], v[29:30]
	s_waitcnt vmcnt(9)
	v_add_f64 v[3:4], v[3:4], v[15:16]
	v_add_f64 v[1:2], v[1:2], v[21:22]
	s_waitcnt vmcnt(8)
	v_add_f64 v[3:4], v[3:4], v[7:8]
	v_add_f64 v[1:2], v[1:2], v[13:14]
	s_waitcnt vmcnt(7)
	v_add_f64 v[3:4], v[3:4], v[11:12]
	v_add_f64 v[1:2], v[1:2], v[5:6]
	s_waitcnt vmcnt(6)
	v_add_f64 v[3:4], v[3:4], v[19:20]
	v_add_f64 v[1:2], v[1:2], v[9:10]
	v_add_f64 v[1:2], v[1:2], v[17:18]
	s_waitcnt vmcnt(5)
	v_add_f64 v[3:4], v[3:4], v[27:28]
	v_add_f64 v[1:2], v[1:2], v[25:26]
	s_waitcnt vmcnt(4)
	;; [unrolled: 3-line block ×6, first 2 shown]
	v_add_f64 v[76:77], v[63:64], v[72:73]
	v_add_f64 v[63:64], v[63:64], -v[72:73]
	v_add_f64 v[74:75], v[61:62], v[70:71]
	v_add_f64 v[61:62], v[61:62], -v[70:71]
	v_add_f64 v[3:4], v[3:4], v[72:73]
	v_add_f64 v[1:2], v[1:2], v[70:71]
	v_mul_f64 v[78:79], v[76:77], s[30:31]
	v_mul_f64 v[70:71], v[63:64], s[28:29]
	;; [unrolled: 1-line block ×16, first 2 shown]
	v_fma_f64 v[80:81], v[61:62], s[34:35], v[78:79]
	v_fma_f64 v[72:73], v[74:75], s[30:31], v[70:71]
	v_fma_f64 v[70:71], v[74:75], s[30:31], -v[70:71]
	v_fma_f64 v[84:85], v[74:75], s[24:25], v[82:83]
	v_fma_f64 v[82:83], v[74:75], s[24:25], -v[82:83]
	;; [unrolled: 2-line block ×8, first 2 shown]
	v_fma_f64 v[78:79], v[61:62], s[28:29], v[78:79]
	v_fma_f64 v[91:92], v[61:62], s[26:27], v[89:90]
	;; [unrolled: 1-line block ×6, first 2 shown]
	v_add_f64 v[72:73], v[41:42], v[72:73]
	v_add_f64 v[70:71], v[41:42], v[70:71]
	;; [unrolled: 1-line block ×8, first 2 shown]
	v_fma_f64 v[105:106], v[61:62], s[4:5], v[105:106]
	v_add_f64 v[111:112], v[41:42], v[111:112]
	v_fma_f64 v[115:116], v[61:62], s[40:41], v[113:114]
	v_add_f64 v[109:110], v[41:42], v[109:110]
	;; [unrolled: 2-line block ×9, first 2 shown]
	v_add_f64 v[59:60], v[59:60], -v[67:68]
	v_add_f64 v[80:81], v[43:44], v[80:81]
	v_add_f64 v[78:79], v[43:44], v[78:79]
	;; [unrolled: 1-line block ×17, first 2 shown]
	v_add_f64 v[57:58], v[57:58], -v[65:66]
	v_mul_f64 v[65:66], v[59:60], s[22:23]
	v_fma_f64 v[67:68], v[61:62], s[24:25], v[65:66]
	v_fma_f64 v[65:66], v[61:62], s[24:25], -v[65:66]
	v_add_f64 v[67:68], v[67:68], v[72:73]
	v_mul_f64 v[72:73], v[63:64], s[24:25]
	v_add_f64 v[65:66], v[65:66], v[70:71]
	v_fma_f64 v[74:75], v[57:58], s[26:27], v[72:73]
	v_fma_f64 v[70:71], v[57:58], s[22:23], v[72:73]
	v_mul_f64 v[72:73], v[59:60], s[4:5]
	v_add_f64 v[74:75], v[74:75], v[80:81]
	v_add_f64 v[70:71], v[70:71], v[78:79]
	v_fma_f64 v[76:77], v[61:62], s[6:7], v[72:73]
	v_fma_f64 v[72:73], v[61:62], s[6:7], -v[72:73]
	v_mul_f64 v[78:79], v[63:64], s[6:7]
	v_add_f64 v[76:77], v[76:77], v[84:85]
	v_add_f64 v[72:73], v[72:73], v[82:83]
	v_mul_f64 v[82:83], v[59:60], s[42:43]
	v_fma_f64 v[80:81], v[57:58], s[10:11], v[78:79]
	v_fma_f64 v[78:79], v[57:58], s[4:5], v[78:79]
	v_fma_f64 v[84:85], v[61:62], s[44:45], v[82:83]
	v_fma_f64 v[82:83], v[61:62], s[44:45], -v[82:83]
	v_add_f64 v[78:79], v[78:79], v[89:90]
	v_mul_f64 v[89:90], v[63:64], s[44:45]
	v_add_f64 v[80:81], v[80:81], v[91:92]
	v_add_f64 v[84:85], v[84:85], v[95:96]
	v_add_f64 v[82:83], v[82:83], v[93:94]
	v_mul_f64 v[93:94], v[59:60], s[54:55]
	v_fma_f64 v[91:92], v[57:58], s[46:47], v[89:90]
	v_fma_f64 v[89:90], v[57:58], s[42:43], v[89:90]
	v_fma_f64 v[95:96], v[61:62], s[56:57], v[93:94]
	v_fma_f64 v[93:94], v[61:62], s[56:57], -v[93:94]
	v_add_f64 v[89:90], v[89:90], v[97:98]
	v_mul_f64 v[97:98], v[63:64], s[56:57]
	v_add_f64 v[91:92], v[91:92], v[99:100]
	;; [unrolled: 10-line block ×4, first 2 shown]
	v_add_f64 v[111:112], v[111:112], v[119:120]
	v_add_f64 v[109:110], v[109:110], v[117:118]
	v_mul_f64 v[117:118], v[59:60], s[18:19]
	v_fma_f64 v[115:116], v[57:58], s[36:37], v[113:114]
	v_fma_f64 v[113:114], v[57:58], s[40:41], v[113:114]
	v_mul_f64 v[59:60], v[59:60], s[34:35]
	v_fma_f64 v[119:120], v[61:62], s[16:17], v[117:118]
	v_fma_f64 v[117:118], v[61:62], s[16:17], -v[117:118]
	v_add_f64 v[113:114], v[113:114], v[121:122]
	v_mul_f64 v[121:122], v[63:64], s[16:17]
	v_mul_f64 v[63:64], v[63:64], s[30:31]
	v_add_f64 v[115:116], v[115:116], v[123:124]
	v_add_f64 v[119:120], v[119:120], v[127:128]
	;; [unrolled: 1-line block ×3, first 2 shown]
	v_fma_f64 v[125:126], v[61:62], s[30:31], v[59:60]
	v_fma_f64 v[59:60], v[61:62], s[30:31], -v[59:60]
	v_fma_f64 v[123:124], v[57:58], s[14:15], v[121:122]
	v_fma_f64 v[121:122], v[57:58], s[18:19], v[121:122]
	v_fma_f64 v[127:128], v[57:58], s[28:29], v[63:64]
	v_fma_f64 v[57:58], v[57:58], s[34:35], v[63:64]
	v_add_f64 v[125:126], v[125:126], v[133:134]
	v_add_f64 v[41:42], v[59:60], v[41:42]
	v_add_f64 v[59:60], v[51:52], v[55:56]
	v_add_f64 v[51:52], v[51:52], -v[55:56]
	v_add_f64 v[123:124], v[123:124], v[131:132]
	v_add_f64 v[43:44], v[57:58], v[43:44]
	;; [unrolled: 1-line block ×3, first 2 shown]
	v_add_f64 v[49:50], v[49:50], -v[53:54]
	v_add_f64 v[121:122], v[121:122], v[129:130]
	v_add_f64 v[127:128], v[127:128], v[135:136]
	v_mul_f64 v[61:62], v[59:60], s[16:17]
	v_mul_f64 v[53:54], v[51:52], s[14:15]
	v_fma_f64 v[63:64], v[49:50], s[18:19], v[61:62]
	v_fma_f64 v[55:56], v[57:58], s[16:17], v[53:54]
	v_fma_f64 v[53:54], v[57:58], s[16:17], -v[53:54]
	v_fma_f64 v[61:62], v[49:50], s[14:15], v[61:62]
	v_add_f64 v[63:64], v[63:64], v[74:75]
	v_add_f64 v[55:56], v[55:56], v[67:68]
	;; [unrolled: 1-line block ×3, first 2 shown]
	v_mul_f64 v[65:66], v[51:52], s[42:43]
	v_add_f64 v[61:62], v[61:62], v[70:71]
	v_mul_f64 v[70:71], v[59:60], s[44:45]
	v_fma_f64 v[67:68], v[57:58], s[44:45], v[65:66]
	v_fma_f64 v[65:66], v[57:58], s[44:45], -v[65:66]
	v_fma_f64 v[74:75], v[49:50], s[46:47], v[70:71]
	v_fma_f64 v[70:71], v[49:50], s[42:43], v[70:71]
	v_add_f64 v[67:68], v[67:68], v[76:77]
	v_add_f64 v[65:66], v[65:66], v[72:73]
	v_mul_f64 v[72:73], v[51:52], s[58:59]
	v_add_f64 v[70:71], v[70:71], v[78:79]
	v_mul_f64 v[78:79], v[59:60], s[56:57]
	v_add_f64 v[74:75], v[74:75], v[80:81]
	v_fma_f64 v[76:77], v[57:58], s[56:57], v[72:73]
	v_fma_f64 v[72:73], v[57:58], s[56:57], -v[72:73]
	v_fma_f64 v[80:81], v[49:50], s[54:55], v[78:79]
	v_fma_f64 v[78:79], v[49:50], s[58:59], v[78:79]
	v_add_f64 v[76:77], v[76:77], v[84:85]
	v_add_f64 v[72:73], v[72:73], v[82:83]
	v_mul_f64 v[82:83], v[51:52], s[40:41]
	v_add_f64 v[78:79], v[78:79], v[89:90]
	v_mul_f64 v[89:90], v[59:60], s[38:39]
	v_add_f64 v[80:81], v[80:81], v[91:92]
	;; [unrolled: 10-line block ×4, first 2 shown]
	v_fma_f64 v[103:104], v[57:58], s[30:31], v[101:102]
	v_fma_f64 v[101:102], v[57:58], s[30:31], -v[101:102]
	v_fma_f64 v[107:108], v[49:50], s[34:35], v[105:106]
	v_fma_f64 v[105:106], v[49:50], s[28:29], v[105:106]
	v_add_f64 v[103:104], v[103:104], v[111:112]
	v_add_f64 v[101:102], v[101:102], v[109:110]
	v_mul_f64 v[109:110], v[51:52], s[4:5]
	v_mul_f64 v[51:52], v[51:52], s[48:49]
	v_add_f64 v[105:106], v[105:106], v[113:114]
	v_mul_f64 v[113:114], v[59:60], s[6:7]
	v_mul_f64 v[59:60], v[59:60], s[50:51]
	v_add_f64 v[107:108], v[107:108], v[115:116]
	v_fma_f64 v[111:112], v[57:58], s[6:7], v[109:110]
	v_fma_f64 v[109:110], v[57:58], s[6:7], -v[109:110]
	v_fma_f64 v[115:116], v[49:50], s[10:11], v[113:114]
	v_fma_f64 v[113:114], v[49:50], s[4:5], v[113:114]
	v_add_f64 v[111:112], v[111:112], v[119:120]
	v_add_f64 v[109:110], v[109:110], v[117:118]
	v_fma_f64 v[117:118], v[57:58], s[50:51], v[51:52]
	v_fma_f64 v[51:52], v[57:58], s[50:51], -v[51:52]
	v_fma_f64 v[119:120], v[49:50], s[52:53], v[59:60]
	v_fma_f64 v[49:50], v[49:50], s[48:49], v[59:60]
	v_add_f64 v[115:116], v[115:116], v[123:124]
	v_add_f64 v[113:114], v[113:114], v[121:122]
	;; [unrolled: 1-line block ×5, first 2 shown]
	v_add_f64 v[39:40], v[39:40], -v[47:48]
	v_add_f64 v[43:44], v[49:50], v[43:44]
	v_add_f64 v[49:50], v[37:38], v[45:46]
	v_add_f64 v[37:38], v[37:38], -v[45:46]
	v_add_f64 v[119:120], v[119:120], v[127:128]
	v_mul_f64 v[45:46], v[39:40], s[4:5]
	v_fma_f64 v[47:48], v[49:50], s[6:7], v[45:46]
	v_fma_f64 v[45:46], v[49:50], s[6:7], -v[45:46]
	v_add_f64 v[47:48], v[47:48], v[55:56]
	v_mul_f64 v[55:56], v[51:52], s[6:7]
	v_add_f64 v[45:46], v[45:46], v[53:54]
	v_fma_f64 v[57:58], v[37:38], s[10:11], v[55:56]
	v_fma_f64 v[53:54], v[37:38], s[4:5], v[55:56]
	v_mul_f64 v[55:56], v[39:40], s[54:55]
	v_add_f64 v[57:58], v[57:58], v[63:64]
	v_add_f64 v[53:54], v[53:54], v[61:62]
	v_fma_f64 v[59:60], v[49:50], s[56:57], v[55:56]
	v_mul_f64 v[61:62], v[51:52], s[56:57]
	v_fma_f64 v[55:56], v[49:50], s[56:57], -v[55:56]
	v_add_f64 v[59:60], v[59:60], v[67:68]
	v_fma_f64 v[63:64], v[37:38], s[58:59], v[61:62]
	v_add_f64 v[55:56], v[55:56], v[65:66]
	v_fma_f64 v[61:62], v[37:38], s[54:55], v[61:62]
	v_mul_f64 v[65:66], v[39:40], s[40:41]
	v_add_f64 v[63:64], v[63:64], v[74:75]
	v_add_f64 v[61:62], v[61:62], v[70:71]
	v_fma_f64 v[67:68], v[49:50], s[38:39], v[65:66]
	v_mul_f64 v[70:71], v[51:52], s[38:39]
	v_fma_f64 v[65:66], v[49:50], s[38:39], -v[65:66]
	v_add_f64 v[67:68], v[67:68], v[76:77]
	v_fma_f64 v[74:75], v[37:38], s[36:37], v[70:71]
	v_add_f64 v[65:66], v[65:66], v[72:73]
	;; [unrolled: 10-line block ×5, first 2 shown]
	v_fma_f64 v[97:98], v[37:38], s[48:49], v[97:98]
	v_mul_f64 v[101:102], v[39:40], s[46:47]
	v_mul_f64 v[39:40], v[39:40], s[26:27]
	v_add_f64 v[99:100], v[99:100], v[107:108]
	v_add_f64 v[97:98], v[97:98], v[105:106]
	v_fma_f64 v[103:104], v[49:50], s[44:45], v[101:102]
	v_mul_f64 v[105:106], v[51:52], s[44:45]
	v_mul_f64 v[51:52], v[51:52], s[24:25]
	v_fma_f64 v[101:102], v[49:50], s[44:45], -v[101:102]
	v_add_f64 v[103:104], v[103:104], v[111:112]
	v_fma_f64 v[107:108], v[37:38], s[42:43], v[105:106]
	v_fma_f64 v[105:106], v[37:38], s[46:47], v[105:106]
	;; [unrolled: 1-line block ×4, first 2 shown]
	v_add_f64 v[101:102], v[101:102], v[109:110]
	v_fma_f64 v[109:110], v[49:50], s[24:25], v[39:40]
	v_fma_f64 v[39:40], v[49:50], s[24:25], -v[39:40]
	v_add_f64 v[107:108], v[107:108], v[115:116]
	v_add_f64 v[115:116], v[15:16], -v[19:20]
	v_add_f64 v[105:106], v[105:106], v[113:114]
	v_add_f64 v[37:38], v[37:38], v[43:44]
	;; [unrolled: 1-line block ×3, first 2 shown]
	v_add_f64 v[31:32], v[31:32], -v[35:36]
	v_add_f64 v[39:40], v[39:40], v[41:42]
	v_add_f64 v[41:42], v[29:30], v[33:34]
	v_add_f64 v[29:30], v[29:30], -v[33:34]
	v_add_f64 v[109:110], v[109:110], v[117:118]
	v_add_f64 v[111:112], v[111:112], v[119:120]
	v_add_f64 v[113:114], v[13:14], -v[17:18]
	v_mul_f64 v[33:34], v[31:32], s[36:37]
	v_fma_f64 v[35:36], v[41:42], s[38:39], v[33:34]
	v_fma_f64 v[33:34], v[41:42], s[38:39], -v[33:34]
	v_add_f64 v[35:36], v[35:36], v[47:48]
	v_mul_f64 v[47:48], v[43:44], s[38:39]
	v_add_f64 v[33:34], v[33:34], v[45:46]
	v_fma_f64 v[49:50], v[29:30], s[40:41], v[47:48]
	v_fma_f64 v[45:46], v[29:30], s[36:37], v[47:48]
	v_mul_f64 v[47:48], v[31:32], s[52:53]
	v_add_f64 v[49:50], v[49:50], v[57:58]
	v_add_f64 v[45:46], v[45:46], v[53:54]
	v_fma_f64 v[51:52], v[41:42], s[50:51], v[47:48]
	v_fma_f64 v[47:48], v[41:42], s[50:51], -v[47:48]
	v_mul_f64 v[53:54], v[43:44], s[50:51]
	v_add_f64 v[51:52], v[51:52], v[59:60]
	v_add_f64 v[47:48], v[47:48], v[55:56]
	v_mul_f64 v[55:56], v[31:32], s[26:27]
	v_fma_f64 v[57:58], v[29:30], s[48:49], v[53:54]
	v_fma_f64 v[53:54], v[29:30], s[52:53], v[53:54]
	v_fma_f64 v[59:60], v[41:42], s[24:25], v[55:56]
	v_fma_f64 v[55:56], v[41:42], s[24:25], -v[55:56]
	v_add_f64 v[53:54], v[53:54], v[61:62]
	v_mul_f64 v[61:62], v[43:44], s[24:25]
	v_add_f64 v[57:58], v[57:58], v[63:64]
	v_add_f64 v[59:60], v[59:60], v[67:68]
	v_add_f64 v[55:56], v[55:56], v[65:66]
	v_mul_f64 v[65:66], v[31:32], s[14:15]
	v_fma_f64 v[63:64], v[29:30], s[22:23], v[61:62]
	v_fma_f64 v[61:62], v[29:30], s[26:27], v[61:62]
	v_fma_f64 v[67:68], v[41:42], s[16:17], v[65:66]
	v_fma_f64 v[65:66], v[41:42], s[16:17], -v[65:66]
	v_add_f64 v[61:62], v[61:62], v[70:71]
	v_mul_f64 v[70:71], v[43:44], s[16:17]
	v_add_f64 v[63:64], v[63:64], v[74:75]
	;; [unrolled: 10-line block ×4, first 2 shown]
	v_add_f64 v[84:85], v[84:85], v[95:96]
	v_add_f64 v[82:83], v[82:83], v[93:94]
	v_mul_f64 v[93:94], v[31:32], s[28:29]
	v_fma_f64 v[91:92], v[29:30], s[4:5], v[89:90]
	v_fma_f64 v[89:90], v[29:30], s[10:11], v[89:90]
	v_mul_f64 v[31:32], v[31:32], s[42:43]
	v_fma_f64 v[95:96], v[41:42], s[30:31], v[93:94]
	v_fma_f64 v[93:94], v[41:42], s[30:31], -v[93:94]
	v_add_f64 v[89:90], v[89:90], v[97:98]
	v_mul_f64 v[97:98], v[43:44], s[30:31]
	v_mul_f64 v[43:44], v[43:44], s[44:45]
	v_add_f64 v[91:92], v[91:92], v[99:100]
	v_add_f64 v[95:96], v[95:96], v[103:104]
	;; [unrolled: 1-line block ×3, first 2 shown]
	v_fma_f64 v[101:102], v[41:42], s[44:45], v[31:32]
	v_fma_f64 v[31:32], v[41:42], s[44:45], -v[31:32]
	v_fma_f64 v[99:100], v[29:30], s[34:35], v[97:98]
	v_fma_f64 v[97:98], v[29:30], s[28:29], v[97:98]
	;; [unrolled: 1-line block ×4, first 2 shown]
	v_add_f64 v[101:102], v[101:102], v[109:110]
	v_add_f64 v[31:32], v[31:32], v[39:40]
	;; [unrolled: 1-line block ×3, first 2 shown]
	v_add_f64 v[23:24], v[23:24], -v[27:28]
	v_add_f64 v[109:110], v[13:14], v[17:18]
	v_add_f64 v[29:30], v[29:30], v[37:38]
	;; [unrolled: 1-line block ×3, first 2 shown]
	v_add_f64 v[21:22], v[21:22], -v[25:26]
	v_mul_f64 v[13:14], v[115:116], s[48:49]
	v_add_f64 v[97:98], v[97:98], v[105:106]
	v_add_f64 v[103:104], v[103:104], v[111:112]
	;; [unrolled: 1-line block ×4, first 2 shown]
	v_mul_f64 v[25:26], v[23:24], s[42:43]
	v_fma_f64 v[15:16], v[109:110], s[50:51], v[13:14]
	v_fma_f64 v[13:14], v[109:110], s[50:51], -v[13:14]
	v_mul_f64 v[19:20], v[111:112], s[16:17]
	v_fma_f64 v[27:28], v[37:38], s[44:45], v[25:26]
	v_fma_f64 v[25:26], v[37:38], s[44:45], -v[25:26]
	v_add_f64 v[27:28], v[27:28], v[35:36]
	v_mul_f64 v[35:36], v[39:40], s[44:45]
	v_add_f64 v[25:26], v[25:26], v[33:34]
	v_fma_f64 v[33:34], v[21:22], s[42:43], v[35:36]
	v_fma_f64 v[41:42], v[21:22], s[46:47], v[35:36]
	v_mul_f64 v[35:36], v[23:24], s[40:41]
	v_add_f64 v[33:34], v[33:34], v[45:46]
	v_mul_f64 v[45:46], v[39:40], s[38:39]
	v_add_f64 v[41:42], v[41:42], v[49:50]
	v_fma_f64 v[43:44], v[37:38], s[38:39], v[35:36]
	v_fma_f64 v[35:36], v[37:38], s[38:39], -v[35:36]
	v_fma_f64 v[49:50], v[21:22], s[36:37], v[45:46]
	v_fma_f64 v[45:46], v[21:22], s[40:41], v[45:46]
	v_add_f64 v[43:44], v[43:44], v[51:52]
	v_add_f64 v[35:36], v[35:36], v[47:48]
	v_mul_f64 v[47:48], v[23:24], s[28:29]
	v_add_f64 v[49:50], v[49:50], v[57:58]
	v_add_f64 v[45:46], v[45:46], v[53:54]
	v_mul_f64 v[53:54], v[39:40], s[30:31]
	v_fma_f64 v[51:52], v[37:38], s[30:31], v[47:48]
	v_fma_f64 v[47:48], v[37:38], s[30:31], -v[47:48]
	v_fma_f64 v[57:58], v[21:22], s[34:35], v[53:54]
	v_fma_f64 v[53:54], v[21:22], s[28:29], v[53:54]
	v_add_f64 v[51:52], v[51:52], v[59:60]
	v_add_f64 v[47:48], v[47:48], v[55:56]
	v_mul_f64 v[55:56], v[23:24], s[48:49]
	v_add_f64 v[57:58], v[57:58], v[63:64]
	v_add_f64 v[53:54], v[53:54], v[61:62]
	v_mul_f64 v[61:62], v[39:40], s[50:51]
	v_fma_f64 v[59:60], v[37:38], s[50:51], v[55:56]
	v_fma_f64 v[55:56], v[37:38], s[50:51], -v[55:56]
	v_fma_f64 v[63:64], v[21:22], s[52:53], v[61:62]
	v_fma_f64 v[61:62], v[21:22], s[48:49], v[61:62]
	v_add_f64 v[59:60], v[59:60], v[67:68]
	v_add_f64 v[55:56], v[55:56], v[65:66]
	v_mul_f64 v[65:66], v[23:24], s[10:11]
	v_add_f64 v[63:64], v[63:64], v[74:75]
	v_add_f64 v[61:62], v[61:62], v[70:71]
	v_mul_f64 v[70:71], v[39:40], s[6:7]
	v_fma_f64 v[67:68], v[37:38], s[6:7], v[65:66]
	v_fma_f64 v[65:66], v[37:38], s[6:7], -v[65:66]
	v_fma_f64 v[74:75], v[21:22], s[4:5], v[70:71]
	v_fma_f64 v[70:71], v[21:22], s[10:11], v[70:71]
	v_add_f64 v[67:68], v[67:68], v[76:77]
	v_add_f64 v[65:66], v[65:66], v[72:73]
	;; [unrolled: 1-line block ×3, first 2 shown]
	v_mul_f64 v[15:16], v[111:112], s[50:51]
	v_mul_f64 v[27:28], v[111:112], s[6:7]
	v_add_f64 v[80:81], v[74:75], v[80:81]
	v_add_f64 v[78:79], v[70:71], v[78:79]
	v_mul_f64 v[70:71], v[23:24], s[22:23]
	v_fma_f64 v[17:18], v[113:114], s[52:53], v[15:16]
	v_fma_f64 v[72:73], v[37:38], s[24:25], v[70:71]
	v_fma_f64 v[70:71], v[37:38], s[24:25], -v[70:71]
	v_add_f64 v[84:85], v[72:73], v[84:85]
	v_mul_f64 v[72:73], v[39:40], s[24:25]
	v_add_f64 v[82:83], v[70:71], v[82:83]
	v_fma_f64 v[70:71], v[21:22], s[22:23], v[72:73]
	v_fma_f64 v[74:75], v[21:22], s[26:27], v[72:73]
	v_add_f64 v[89:90], v[70:71], v[89:90]
	v_mul_f64 v[70:71], v[23:24], s[54:55]
	v_mul_f64 v[23:24], v[23:24], s[18:19]
	v_add_f64 v[91:92], v[74:75], v[91:92]
	v_fma_f64 v[72:73], v[37:38], s[56:57], v[70:71]
	v_fma_f64 v[70:71], v[37:38], s[56:57], -v[70:71]
	v_add_f64 v[95:96], v[72:73], v[95:96]
	v_mul_f64 v[72:73], v[39:40], s[56:57]
	v_add_f64 v[93:94], v[70:71], v[93:94]
	v_mul_f64 v[39:40], v[39:40], s[16:17]
	v_fma_f64 v[70:71], v[21:22], s[54:55], v[72:73]
	v_fma_f64 v[74:75], v[21:22], s[58:59], v[72:73]
	v_add_f64 v[72:73], v[13:14], v[25:26]
	v_fma_f64 v[13:14], v[113:114], s[48:49], v[15:16]
	v_fma_f64 v[15:16], v[113:114], s[14:15], v[19:20]
	v_mul_f64 v[25:26], v[115:116], s[4:5]
	v_fma_f64 v[19:20], v[113:114], s[18:19], v[19:20]
	v_add_f64 v[97:98], v[70:71], v[97:98]
	v_fma_f64 v[70:71], v[37:38], s[16:17], v[23:24]
	v_add_f64 v[99:100], v[74:75], v[99:100]
	v_add_f64 v[74:75], v[17:18], v[41:42]
	;; [unrolled: 1-line block ×3, first 2 shown]
	v_mul_f64 v[41:42], v[115:116], s[28:29]
	v_mul_f64 v[49:50], v[115:116], s[54:55]
	v_fma_f64 v[23:24], v[37:38], s[16:17], -v[23:24]
	v_mul_f64 v[17:18], v[115:116], s[18:19]
	v_add_f64 v[19:20], v[19:20], v[45:46]
	v_add_f64 v[101:102], v[70:71], v[101:102]
	v_fma_f64 v[70:71], v[21:22], s[14:15], v[39:40]
	v_fma_f64 v[21:22], v[21:22], s[18:19], v[39:40]
	;; [unrolled: 1-line block ×4, first 2 shown]
	v_fma_f64 v[49:50], v[109:110], s[56:57], -v[49:50]
	v_fma_f64 v[41:42], v[109:110], s[30:31], -v[41:42]
	v_add_f64 v[105:106], v[23:24], v[31:32]
	v_fma_f64 v[23:24], v[113:114], s[10:11], v[27:28]
	v_fma_f64 v[27:28], v[113:114], s[4:5], v[27:28]
	v_add_f64 v[103:104], v[70:71], v[103:104]
	v_add_f64 v[107:108], v[21:22], v[29:30]
	v_fma_f64 v[21:22], v[109:110], s[6:7], v[25:26]
	v_add_f64 v[70:71], v[13:14], v[33:34]
	v_fma_f64 v[13:14], v[109:110], s[16:17], v[17:18]
	v_fma_f64 v[17:18], v[109:110], s[16:17], -v[17:18]
	v_add_f64 v[37:38], v[37:38], v[67:68]
	v_add_f64 v[67:68], v[49:50], v[82:83]
	v_fma_f64 v[25:26], v[109:110], s[6:7], -v[25:26]
	v_add_f64 v[41:42], v[41:42], v[65:66]
	v_mul_f64 v[33:34], v[115:116], s[46:47]
	v_add_f64 v[27:28], v[27:28], v[53:54]
	v_add_f64 v[82:83], v[7:8], v[11:12]
	;; [unrolled: 1-line block ×4, first 2 shown]
	v_add_f64 v[84:85], v[7:8], -v[11:12]
	v_add_f64 v[21:22], v[21:22], v[51:52]
	v_mul_f64 v[51:52], v[111:112], s[56:57]
	v_add_f64 v[13:14], v[13:14], v[43:44]
	v_add_f64 v[17:18], v[17:18], v[35:36]
	v_mul_f64 v[35:36], v[111:112], s[44:45]
	v_mul_f64 v[43:44], v[111:112], s[30:31]
	v_add_f64 v[25:26], v[25:26], v[47:48]
	v_fma_f64 v[29:30], v[109:110], s[44:45], v[33:34]
	v_fma_f64 v[33:34], v[109:110], s[44:45], -v[33:34]
	v_mul_f64 v[11:12], v[82:83], s[56:57]
	v_fma_f64 v[49:50], v[113:114], s[54:55], v[51:52]
	v_fma_f64 v[47:48], v[113:114], s[58:59], v[51:52]
	;; [unrolled: 1-line block ×6, first 2 shown]
	v_add_f64 v[29:30], v[29:30], v[59:60]
	v_add_f64 v[33:34], v[33:34], v[55:56]
	;; [unrolled: 1-line block ×3, first 2 shown]
	v_mul_f64 v[49:50], v[115:116], s[26:27]
	v_add_f64 v[47:48], v[47:48], v[91:92]
	v_add_f64 v[31:32], v[31:32], v[63:64]
	;; [unrolled: 1-line block ×5, first 2 shown]
	v_mul_f64 v[78:79], v[111:112], s[38:39]
	v_add_f64 v[80:81], v[5:6], v[9:10]
	v_fma_f64 v[51:52], v[109:110], s[24:25], v[49:50]
	v_fma_f64 v[49:50], v[109:110], s[24:25], -v[49:50]
	v_add_f64 v[63:64], v[51:52], v[95:96]
	v_mul_f64 v[51:52], v[111:112], s[24:25]
	v_add_f64 v[59:60], v[49:50], v[93:94]
	v_fma_f64 v[49:50], v[113:114], s[26:27], v[51:52]
	v_fma_f64 v[53:54], v[113:114], s[22:23], v[51:52]
	v_add_f64 v[61:62], v[49:50], v[97:98]
	v_mul_f64 v[49:50], v[115:116], s[36:37]
	v_add_f64 v[57:58], v[53:54], v[99:100]
	v_fma_f64 v[51:52], v[109:110], s[38:39], v[49:50]
	v_fma_f64 v[49:50], v[109:110], s[38:39], -v[49:50]
	v_add_f64 v[55:56], v[51:52], v[101:102]
	v_fma_f64 v[51:52], v[113:114], s[40:41], v[78:79]
	v_add_f64 v[53:54], v[51:52], v[103:104]
	v_add_f64 v[51:52], v[49:50], v[105:106]
	v_fma_f64 v[49:50], v[113:114], s[36:37], v[78:79]
	v_add_f64 v[78:79], v[5:6], -v[9:10]
	v_mul_f64 v[9:10], v[84:85], s[54:55]
	v_add_f64 v[49:50], v[49:50], v[107:108]
	v_fma_f64 v[7:8], v[78:79], s[58:59], v[11:12]
	v_fma_f64 v[11:12], v[78:79], s[54:55], v[11:12]
	;; [unrolled: 1-line block ×3, first 2 shown]
	v_fma_f64 v[9:10], v[80:81], s[56:57], -v[9:10]
	v_add_f64 v[7:8], v[7:8], v[74:75]
	v_add_f64 v[11:12], v[11:12], v[70:71]
	v_mul_f64 v[70:71], v[84:85], s[34:35]
	v_add_f64 v[9:10], v[9:10], v[72:73]
	v_add_f64 v[5:6], v[5:6], v[76:77]
	v_fma_f64 v[72:73], v[80:81], s[30:31], v[70:71]
	v_fma_f64 v[70:71], v[80:81], s[30:31], -v[70:71]
	v_add_f64 v[13:14], v[72:73], v[13:14]
	v_mul_f64 v[72:73], v[82:83], s[30:31]
	v_add_f64 v[17:18], v[70:71], v[17:18]
	v_fma_f64 v[70:71], v[78:79], s[34:35], v[72:73]
	v_fma_f64 v[74:75], v[78:79], s[28:29], v[72:73]
	v_add_f64 v[19:20], v[70:71], v[19:20]
	v_mul_f64 v[70:71], v[84:85], s[48:49]
	v_add_f64 v[15:16], v[74:75], v[15:16]
	v_fma_f64 v[72:73], v[80:81], s[50:51], v[70:71]
	v_fma_f64 v[70:71], v[80:81], s[50:51], -v[70:71]
	v_add_f64 v[21:22], v[72:73], v[21:22]
	v_mul_f64 v[72:73], v[82:83], s[50:51]
	v_add_f64 v[25:26], v[70:71], v[25:26]
	v_fma_f64 v[70:71], v[78:79], s[48:49], v[72:73]
	v_fma_f64 v[74:75], v[78:79], s[52:53], v[72:73]
	v_add_f64 v[27:28], v[70:71], v[27:28]
	v_mul_f64 v[70:71], v[84:85], s[26:27]
	;; [unrolled: 10-line block ×5, first 2 shown]
	v_add_f64 v[47:48], v[74:75], v[47:48]
	v_mul_f64 v[74:75], v[82:83], s[38:39]
	v_fma_f64 v[65:66], v[80:81], s[38:39], v[67:68]
	v_add_f64 v[63:64], v[65:66], v[63:64]
	v_fma_f64 v[65:66], v[78:79], s[40:41], v[74:75]
	v_add_f64 v[65:66], v[65:66], v[57:58]
	v_fma_f64 v[57:58], v[80:81], s[38:39], -v[67:68]
	v_add_f64 v[57:58], v[57:58], v[59:60]
	v_fma_f64 v[59:60], v[78:79], s[36:37], v[74:75]
	v_add_f64 v[59:60], v[59:60], v[61:62]
	v_mul_f64 v[61:62], v[84:85], s[10:11]
	v_fma_f64 v[67:68], v[80:81], s[6:7], v[61:62]
	v_add_f64 v[74:75], v[67:68], v[55:56]
	v_mul_f64 v[55:56], v[82:83], s[6:7]
	v_fma_f64 v[67:68], v[78:79], s[4:5], v[55:56]
	v_add_f64 v[76:77], v[67:68], v[53:54]
	v_fma_f64 v[53:54], v[80:81], s[6:7], -v[61:62]
	v_add_f64 v[51:52], v[53:54], v[51:52]
	v_fma_f64 v[53:54], v[78:79], s[10:11], v[55:56]
	v_add_f64 v[53:54], v[53:54], v[49:50]
	v_mul_u32_u24_e32 v49, 0x770, v87
	v_lshlrev_b32_e32 v50, 4, v88
	v_add3_u32 v49, 0, v49, v50
	ds_write_b128 v49, v[1:4]
	ds_write_b128 v49, v[5:8] offset:112
	ds_write_b128 v49, v[13:16] offset:224
	;; [unrolled: 1-line block ×16, first 2 shown]
	v_mul_lo_u16 v53, v87, 31
	v_mul_u32_u24_e32 v1, 0x70, v87
	s_waitcnt lgkmcnt(0)
	s_barrier
	buffer_gl0_inv
	v_lshrrev_b16 v53, 9, v53
	v_add3_u32 v5, 0, v1, v50
	ds_read_b128 v[1:4], v5
	ds_read_b128 v[37:40], v5 offset:1904
	ds_read_b128 v[41:44], v5 offset:3808
	;; [unrolled: 1-line block ×16, first 2 shown]
	v_mul_lo_u16 v53, v53, 17
	v_sub_nc_u16 v53, v87, v53
	v_and_b32_e32 v74, 0xff, v53
	v_lshlrev_b32_e32 v85, 8, v74
	s_clause 0x3
	global_load_dwordx4 v[87:90], v85, s[20:21] offset:48
	global_load_dwordx4 v[53:56], v85, s[20:21] offset:32
	;; [unrolled: 1-line block ×3, first 2 shown]
	global_load_dwordx4 v[91:94], v85, s[20:21]
	v_add_nc_u32_sdwa v0, v74, v0 dst_sel:DWORD dst_unused:UNUSED_PAD src0_sel:DWORD src1_sel:WORD_0
	s_waitcnt vmcnt(0) lgkmcnt(15)
	v_mul_f64 v[61:62], v[39:40], v[93:94]
	v_fma_f64 v[67:68], v[37:38], v[91:92], v[61:62]
	v_mul_f64 v[37:38], v[37:38], v[93:94]
	v_fma_f64 v[83:84], v[39:40], v[91:92], -v[37:38]
	s_waitcnt lgkmcnt(14)
	v_mul_f64 v[37:38], v[43:44], v[59:60]
	v_fma_f64 v[91:92], v[41:42], v[57:58], v[37:38]
	v_mul_f64 v[37:38], v[41:42], v[59:60]
	v_fma_f64 v[93:94], v[43:44], v[57:58], -v[37:38]
	s_waitcnt lgkmcnt(13)
	;; [unrolled: 5-line block ×3, first 2 shown]
	v_mul_f64 v[37:38], v[51:52], v[89:90]
	v_fma_f64 v[55:56], v[49:50], v[87:88], v[37:38]
	v_mul_f64 v[37:38], v[49:50], v[89:90]
	v_fma_f64 v[57:58], v[51:52], v[87:88], -v[37:38]
	s_clause 0x3
	global_load_dwordx4 v[87:90], v85, s[20:21] offset:112
	global_load_dwordx4 v[37:40], v85, s[20:21] offset:96
	;; [unrolled: 1-line block ×4, first 2 shown]
	s_waitcnt vmcnt(0) lgkmcnt(11)
	v_mul_f64 v[49:50], v[65:66], v[47:48]
	v_mul_f64 v[47:48], v[63:64], v[47:48]
	v_fma_f64 v[51:52], v[63:64], v[45:46], v[49:50]
	v_fma_f64 v[53:54], v[65:66], v[45:46], -v[47:48]
	s_waitcnt lgkmcnt(10)
	v_mul_f64 v[45:46], v[72:73], v[43:44]
	v_mul_f64 v[43:44], v[70:71], v[43:44]
	v_fma_f64 v[47:48], v[70:71], v[41:42], v[45:46]
	v_fma_f64 v[49:50], v[72:73], v[41:42], -v[43:44]
	s_waitcnt lgkmcnt(9)
	;; [unrolled: 5-line block ×3, first 2 shown]
	v_mul_f64 v[37:38], v[81:82], v[89:90]
	v_mul_f64 v[39:40], v[79:80], v[89:90]
	v_fma_f64 v[37:38], v[79:80], v[87:88], v[37:38]
	v_fma_f64 v[39:40], v[81:82], v[87:88], -v[39:40]
	s_clause 0x3
	global_load_dwordx4 v[63:66], v85, s[20:21] offset:176
	global_load_dwordx4 v[70:73], v85, s[20:21] offset:160
	global_load_dwordx4 v[75:78], v85, s[20:21] offset:144
	global_load_dwordx4 v[79:82], v85, s[20:21] offset:128
	s_waitcnt vmcnt(0) lgkmcnt(7)
	v_mul_f64 v[45:46], v[35:36], v[81:82]
	v_fma_f64 v[45:46], v[33:34], v[79:80], v[45:46]
	v_mul_f64 v[33:34], v[33:34], v[81:82]
	v_fma_f64 v[33:34], v[35:36], v[79:80], -v[33:34]
	s_waitcnt lgkmcnt(6)
	v_mul_f64 v[35:36], v[31:32], v[77:78]
	v_fma_f64 v[35:36], v[29:30], v[75:76], v[35:36]
	v_mul_f64 v[29:30], v[29:30], v[77:78]
	v_fma_f64 v[29:30], v[31:32], v[75:76], -v[29:30]
	s_waitcnt lgkmcnt(5)
	;; [unrolled: 5-line block ×3, first 2 shown]
	v_mul_f64 v[27:28], v[23:24], v[65:66]
	v_fma_f64 v[27:28], v[21:22], v[63:64], v[27:28]
	v_mul_f64 v[21:22], v[21:22], v[65:66]
	v_fma_f64 v[79:80], v[23:24], v[63:64], -v[21:22]
	s_clause 0x3
	global_load_dwordx4 v[21:24], v85, s[20:21] offset:240
	global_load_dwordx4 v[63:66], v85, s[20:21] offset:224
	;; [unrolled: 1-line block ×4, first 2 shown]
	s_waitcnt vmcnt(0) lgkmcnt(3)
	v_mul_f64 v[81:82], v[19:20], v[77:78]
	v_fma_f64 v[81:82], v[17:18], v[75:76], v[81:82]
	v_mul_f64 v[17:18], v[17:18], v[77:78]
	v_fma_f64 v[17:18], v[19:20], v[75:76], -v[17:18]
	s_waitcnt lgkmcnt(2)
	v_mul_f64 v[19:20], v[15:16], v[72:73]
	v_fma_f64 v[19:20], v[13:14], v[70:71], v[19:20]
	v_mul_f64 v[13:14], v[13:14], v[72:73]
	v_fma_f64 v[13:14], v[15:16], v[70:71], -v[13:14]
	s_waitcnt lgkmcnt(1)
	;; [unrolled: 5-line block ×3, first 2 shown]
	v_mul_f64 v[11:12], v[7:8], v[23:24]
	v_fma_f64 v[11:12], v[5:6], v[21:22], v[11:12]
	v_mul_f64 v[5:6], v[5:6], v[23:24]
	v_add_f64 v[23:24], v[67:68], v[11:12]
	v_fma_f64 v[21:22], v[7:8], v[21:22], -v[5:6]
	v_add_f64 v[7:8], v[3:4], v[83:84]
	v_add_f64 v[5:6], v[1:2], v[67:68]
	;; [unrolled: 1-line block ×5, first 2 shown]
	v_mul_f64 v[70:71], v[63:64], s[30:31]
	v_add_f64 v[7:8], v[7:8], v[61:62]
	v_add_f64 v[5:6], v[5:6], v[59:60]
	v_mul_f64 v[97:98], v[63:64], s[16:17]
	v_mul_f64 v[105:106], v[63:64], s[6:7]
	;; [unrolled: 1-line block ×5, first 2 shown]
	v_add_f64 v[7:8], v[7:8], v[57:58]
	v_add_f64 v[5:6], v[5:6], v[55:56]
	v_add_f64 v[7:8], v[7:8], v[53:54]
	v_add_f64 v[5:6], v[5:6], v[51:52]
	v_add_f64 v[7:8], v[7:8], v[49:50]
	v_add_f64 v[5:6], v[5:6], v[47:48]
	v_add_f64 v[7:8], v[7:8], v[43:44]
	v_add_f64 v[5:6], v[5:6], v[41:42]
	v_add_f64 v[7:8], v[7:8], v[39:40]
	v_add_f64 v[5:6], v[5:6], v[37:38]
	v_add_f64 v[7:8], v[7:8], v[33:34]
	v_add_f64 v[5:6], v[5:6], v[45:46]
	v_add_f64 v[7:8], v[7:8], v[29:30]
	v_add_f64 v[5:6], v[5:6], v[35:36]
	v_add_f64 v[7:8], v[7:8], v[25:26]
	v_add_f64 v[5:6], v[5:6], v[31:32]
	v_add_f64 v[7:8], v[7:8], v[79:80]
	v_add_f64 v[5:6], v[5:6], v[27:28]
	v_add_f64 v[7:8], v[7:8], v[17:18]
	v_add_f64 v[5:6], v[5:6], v[81:82]
	v_add_f64 v[7:8], v[7:8], v[13:14]
	v_add_f64 v[5:6], v[5:6], v[19:20]
	v_add_f64 v[7:8], v[7:8], v[9:10]
	v_add_f64 v[5:6], v[5:6], v[15:16]
	v_add_f64 v[7:8], v[7:8], v[21:22]
	v_add_f64 v[21:22], v[83:84], -v[21:22]
	v_add_f64 v[5:6], v[5:6], v[11:12]
	v_add_f64 v[11:12], v[67:68], -v[11:12]
	v_mul_f64 v[83:84], v[63:64], s[24:25]
	v_mul_f64 v[63:64], v[63:64], s[56:57]
	;; [unrolled: 1-line block ×10, first 2 shown]
	v_fma_f64 v[72:73], v[11:12], s[34:35], v[70:71]
	v_fma_f64 v[70:71], v[11:12], s[28:29], v[70:71]
	;; [unrolled: 1-line block ×15, first 2 shown]
	v_fma_f64 v[65:66], v[23:24], s[30:31], -v[65:66]
	v_fma_f64 v[77:78], v[23:24], s[24:25], v[75:76]
	v_fma_f64 v[75:76], v[23:24], s[24:25], -v[75:76]
	v_fma_f64 v[95:96], v[23:24], s[16:17], v[89:90]
	;; [unrolled: 2-line block ×8, first 2 shown]
	v_fma_f64 v[11:12], v[11:12], s[54:55], v[63:64]
	v_add_f64 v[72:73], v[3:4], v[72:73]
	v_add_f64 v[70:71], v[3:4], v[70:71]
	;; [unrolled: 1-line block ×21, first 2 shown]
	v_add_f64 v[9:10], v[93:94], -v[9:10]
	v_add_f64 v[99:100], v[3:4], v[99:100]
	v_add_f64 v[97:98], v[3:4], v[97:98]
	;; [unrolled: 1-line block ×13, first 2 shown]
	v_add_f64 v[15:16], v[91:92], -v[15:16]
	v_mul_f64 v[23:24], v[9:10], s[22:23]
	v_fma_f64 v[63:64], v[11:12], s[24:25], v[23:24]
	v_fma_f64 v[23:24], v[11:12], s[24:25], -v[23:24]
	v_add_f64 v[63:64], v[63:64], v[67:68]
	v_mul_f64 v[67:68], v[21:22], s[24:25]
	v_add_f64 v[23:24], v[23:24], v[65:66]
	v_fma_f64 v[91:92], v[15:16], s[26:27], v[67:68]
	v_fma_f64 v[65:66], v[15:16], s[22:23], v[67:68]
	v_mul_f64 v[67:68], v[9:10], s[4:5]
	v_add_f64 v[72:73], v[91:92], v[72:73]
	v_add_f64 v[65:66], v[65:66], v[70:71]
	v_fma_f64 v[70:71], v[11:12], s[6:7], v[67:68]
	v_fma_f64 v[67:68], v[11:12], s[6:7], -v[67:68]
	v_add_f64 v[70:71], v[70:71], v[77:78]
	v_mul_f64 v[77:78], v[21:22], s[6:7]
	v_add_f64 v[67:68], v[67:68], v[75:76]
	v_fma_f64 v[91:92], v[15:16], s[10:11], v[77:78]
	v_fma_f64 v[75:76], v[15:16], s[4:5], v[77:78]
	v_mul_f64 v[77:78], v[9:10], s[42:43]
	v_add_f64 v[87:88], v[91:92], v[87:88]
	v_add_f64 v[75:76], v[75:76], v[83:84]
	v_fma_f64 v[83:84], v[11:12], s[44:45], v[77:78]
	v_mul_f64 v[91:92], v[21:22], s[44:45]
	v_fma_f64 v[77:78], v[11:12], s[44:45], -v[77:78]
	v_add_f64 v[83:84], v[83:84], v[95:96]
	v_fma_f64 v[93:94], v[15:16], s[46:47], v[91:92]
	v_add_f64 v[77:78], v[77:78], v[89:90]
	v_fma_f64 v[89:90], v[15:16], s[42:43], v[91:92]
	v_mul_f64 v[91:92], v[9:10], s[54:55]
	v_add_f64 v[93:94], v[93:94], v[99:100]
	v_add_f64 v[89:90], v[89:90], v[97:98]
	v_fma_f64 v[95:96], v[11:12], s[56:57], v[91:92]
	v_fma_f64 v[91:92], v[11:12], s[56:57], -v[91:92]
	v_mul_f64 v[97:98], v[21:22], s[56:57]
	v_add_f64 v[95:96], v[95:96], v[103:104]
	v_add_f64 v[91:92], v[91:92], v[101:102]
	v_mul_f64 v[101:102], v[9:10], s[52:53]
	v_fma_f64 v[99:100], v[15:16], s[58:59], v[97:98]
	v_fma_f64 v[97:98], v[15:16], s[54:55], v[97:98]
	;; [unrolled: 1-line block ×3, first 2 shown]
	v_fma_f64 v[101:102], v[11:12], s[50:51], -v[101:102]
	v_add_f64 v[97:98], v[97:98], v[105:106]
	v_mul_f64 v[105:106], v[21:22], s[50:51]
	v_add_f64 v[99:100], v[99:100], v[107:108]
	v_add_f64 v[103:104], v[103:104], v[111:112]
	;; [unrolled: 1-line block ×3, first 2 shown]
	v_mul_f64 v[109:110], v[9:10], s[40:41]
	v_fma_f64 v[107:108], v[15:16], s[48:49], v[105:106]
	v_fma_f64 v[105:106], v[15:16], s[52:53], v[105:106]
	;; [unrolled: 1-line block ×3, first 2 shown]
	v_fma_f64 v[109:110], v[11:12], s[38:39], -v[109:110]
	v_add_f64 v[105:106], v[105:106], v[113:114]
	v_mul_f64 v[113:114], v[21:22], s[38:39]
	v_add_f64 v[107:108], v[107:108], v[115:116]
	v_add_f64 v[111:112], v[111:112], v[119:120]
	;; [unrolled: 1-line block ×3, first 2 shown]
	v_mul_f64 v[117:118], v[9:10], s[18:19]
	v_fma_f64 v[115:116], v[15:16], s[36:37], v[113:114]
	v_fma_f64 v[113:114], v[15:16], s[40:41], v[113:114]
	v_mul_f64 v[9:10], v[9:10], s[34:35]
	v_fma_f64 v[119:120], v[11:12], s[16:17], v[117:118]
	v_fma_f64 v[117:118], v[11:12], s[16:17], -v[117:118]
	v_add_f64 v[113:114], v[113:114], v[121:122]
	v_mul_f64 v[121:122], v[21:22], s[16:17]
	v_mul_f64 v[21:22], v[21:22], s[30:31]
	v_add_f64 v[115:116], v[115:116], v[123:124]
	v_add_f64 v[119:120], v[119:120], v[127:128]
	;; [unrolled: 1-line block ×3, first 2 shown]
	v_fma_f64 v[125:126], v[11:12], s[30:31], v[9:10]
	v_fma_f64 v[9:10], v[11:12], s[30:31], -v[9:10]
	v_add_f64 v[11:12], v[61:62], v[13:14]
	v_add_f64 v[13:14], v[61:62], -v[13:14]
	v_fma_f64 v[123:124], v[15:16], s[14:15], v[121:122]
	v_fma_f64 v[121:122], v[15:16], s[18:19], v[121:122]
	;; [unrolled: 1-line block ×3, first 2 shown]
	v_add_f64 v[125:126], v[125:126], v[133:134]
	v_add_f64 v[1:2], v[9:10], v[1:2]
	v_fma_f64 v[9:10], v[15:16], s[34:35], v[21:22]
	v_add_f64 v[15:16], v[59:60], -v[19:20]
	v_add_f64 v[123:124], v[123:124], v[131:132]
	v_add_f64 v[121:122], v[121:122], v[129:130]
	;; [unrolled: 1-line block ×5, first 2 shown]
	v_mul_f64 v[19:20], v[13:14], s[14:15]
	v_mul_f64 v[59:60], v[11:12], s[16:17]
	v_fma_f64 v[21:22], v[9:10], s[16:17], v[19:20]
	v_fma_f64 v[19:20], v[9:10], s[16:17], -v[19:20]
	v_fma_f64 v[61:62], v[15:16], s[18:19], v[59:60]
	v_add_f64 v[21:22], v[21:22], v[63:64]
	v_add_f64 v[19:20], v[19:20], v[23:24]
	v_fma_f64 v[23:24], v[15:16], s[14:15], v[59:60]
	v_mul_f64 v[59:60], v[13:14], s[42:43]
	v_add_f64 v[61:62], v[61:62], v[72:73]
	v_add_f64 v[23:24], v[23:24], v[65:66]
	v_fma_f64 v[63:64], v[9:10], s[44:45], v[59:60]
	v_fma_f64 v[59:60], v[9:10], s[44:45], -v[59:60]
	v_mul_f64 v[65:66], v[11:12], s[44:45]
	v_add_f64 v[63:64], v[63:64], v[70:71]
	v_add_f64 v[59:60], v[59:60], v[67:68]
	v_mul_f64 v[67:68], v[13:14], s[58:59]
	v_fma_f64 v[70:71], v[15:16], s[46:47], v[65:66]
	v_fma_f64 v[65:66], v[15:16], s[42:43], v[65:66]
	v_fma_f64 v[72:73], v[9:10], s[56:57], v[67:68]
	v_fma_f64 v[67:68], v[9:10], s[56:57], -v[67:68]
	v_add_f64 v[65:66], v[65:66], v[75:76]
	v_mul_f64 v[75:76], v[11:12], s[56:57]
	v_add_f64 v[70:71], v[70:71], v[87:88]
	v_add_f64 v[72:73], v[72:73], v[83:84]
	v_add_f64 v[67:68], v[67:68], v[77:78]
	v_mul_f64 v[77:78], v[13:14], s[40:41]
	v_fma_f64 v[83:84], v[15:16], s[54:55], v[75:76]
	v_fma_f64 v[75:76], v[15:16], s[58:59], v[75:76]
	v_fma_f64 v[87:88], v[9:10], s[38:39], v[77:78]
	v_fma_f64 v[77:78], v[9:10], s[38:39], -v[77:78]
	v_add_f64 v[75:76], v[75:76], v[89:90]
	v_mul_f64 v[89:90], v[11:12], s[38:39]
	v_add_f64 v[83:84], v[83:84], v[93:94]
	;; [unrolled: 10-line block ×4, first 2 shown]
	v_add_f64 v[103:104], v[103:104], v[111:112]
	v_add_f64 v[101:102], v[101:102], v[109:110]
	v_mul_f64 v[109:110], v[13:14], s[4:5]
	v_fma_f64 v[107:108], v[15:16], s[34:35], v[105:106]
	v_fma_f64 v[105:106], v[15:16], s[28:29], v[105:106]
	v_mul_f64 v[13:14], v[13:14], s[48:49]
	v_fma_f64 v[111:112], v[9:10], s[6:7], v[109:110]
	v_fma_f64 v[109:110], v[9:10], s[6:7], -v[109:110]
	v_add_f64 v[105:106], v[105:106], v[113:114]
	v_mul_f64 v[113:114], v[11:12], s[6:7]
	v_mul_f64 v[11:12], v[11:12], s[50:51]
	v_add_f64 v[107:108], v[107:108], v[115:116]
	v_add_f64 v[111:112], v[111:112], v[119:120]
	;; [unrolled: 1-line block ×3, first 2 shown]
	v_fma_f64 v[117:118], v[9:10], s[50:51], v[13:14]
	v_fma_f64 v[9:10], v[9:10], s[50:51], -v[13:14]
	v_fma_f64 v[115:116], v[15:16], s[10:11], v[113:114]
	v_fma_f64 v[113:114], v[15:16], s[4:5], v[113:114]
	;; [unrolled: 1-line block ×3, first 2 shown]
	v_add_f64 v[13:14], v[55:56], -v[81:82]
	v_add_f64 v[117:118], v[117:118], v[125:126]
	v_add_f64 v[1:2], v[9:10], v[1:2]
	v_fma_f64 v[9:10], v[15:16], s[48:49], v[11:12]
	v_add_f64 v[15:16], v[57:58], -v[17:18]
	v_add_f64 v[11:12], v[57:58], v[17:18]
	v_add_f64 v[113:114], v[113:114], v[121:122]
	;; [unrolled: 1-line block ×6, first 2 shown]
	v_mul_f64 v[17:18], v[15:16], s[4:5]
	v_mul_f64 v[81:82], v[11:12], s[30:31]
	v_fma_f64 v[55:56], v[9:10], s[6:7], v[17:18]
	v_fma_f64 v[17:18], v[9:10], s[6:7], -v[17:18]
	v_add_f64 v[21:22], v[55:56], v[21:22]
	v_mul_f64 v[55:56], v[11:12], s[6:7]
	v_add_f64 v[17:18], v[17:18], v[19:20]
	v_fma_f64 v[19:20], v[13:14], s[4:5], v[55:56]
	v_fma_f64 v[57:58], v[13:14], s[10:11], v[55:56]
	v_add_f64 v[19:20], v[19:20], v[23:24]
	v_mul_f64 v[23:24], v[15:16], s[54:55]
	v_add_f64 v[57:58], v[57:58], v[61:62]
	v_mul_f64 v[61:62], v[11:12], s[56:57]
	v_fma_f64 v[55:56], v[9:10], s[56:57], v[23:24]
	v_fma_f64 v[23:24], v[9:10], s[56:57], -v[23:24]
	v_add_f64 v[55:56], v[55:56], v[63:64]
	v_fma_f64 v[63:64], v[13:14], s[58:59], v[61:62]
	v_add_f64 v[23:24], v[23:24], v[59:60]
	v_fma_f64 v[59:60], v[13:14], s[54:55], v[61:62]
	v_mul_f64 v[61:62], v[15:16], s[40:41]
	v_add_f64 v[63:64], v[63:64], v[70:71]
	v_mul_f64 v[70:71], v[11:12], s[38:39]
	v_add_f64 v[59:60], v[59:60], v[65:66]
	v_fma_f64 v[65:66], v[9:10], s[38:39], v[61:62]
	v_fma_f64 v[61:62], v[9:10], s[38:39], -v[61:62]
	v_add_f64 v[65:66], v[65:66], v[72:73]
	v_fma_f64 v[72:73], v[13:14], s[36:37], v[70:71]
	v_add_f64 v[61:62], v[61:62], v[67:68]
	v_fma_f64 v[67:68], v[13:14], s[40:41], v[70:71]
	v_mul_f64 v[70:71], v[15:16], s[34:35]
	v_add_f64 v[72:73], v[72:73], v[83:84]
	v_fma_f64 v[83:84], v[13:14], s[28:29], v[81:82]
	v_add_f64 v[67:68], v[67:68], v[75:76]
	v_fma_f64 v[75:76], v[9:10], s[30:31], v[70:71]
	v_fma_f64 v[70:71], v[9:10], s[30:31], -v[70:71]
	v_add_f64 v[83:84], v[83:84], v[93:94]
	v_add_f64 v[75:76], v[75:76], v[87:88]
	;; [unrolled: 1-line block ×3, first 2 shown]
	v_fma_f64 v[77:78], v[13:14], s[34:35], v[81:82]
	v_mul_f64 v[81:82], v[15:16], s[14:15]
	v_add_f64 v[77:78], v[77:78], v[89:90]
	v_fma_f64 v[87:88], v[9:10], s[16:17], v[81:82]
	v_fma_f64 v[81:82], v[9:10], s[16:17], -v[81:82]
	v_mul_f64 v[89:90], v[11:12], s[16:17]
	v_add_f64 v[87:88], v[87:88], v[95:96]
	v_add_f64 v[81:82], v[81:82], v[91:92]
	v_mul_f64 v[91:92], v[15:16], s[48:49]
	v_fma_f64 v[93:94], v[13:14], s[18:19], v[89:90]
	v_fma_f64 v[89:90], v[13:14], s[14:15], v[89:90]
	;; [unrolled: 1-line block ×3, first 2 shown]
	v_fma_f64 v[91:92], v[9:10], s[50:51], -v[91:92]
	v_add_f64 v[89:90], v[89:90], v[97:98]
	v_mul_f64 v[97:98], v[11:12], s[50:51]
	v_add_f64 v[93:94], v[93:94], v[99:100]
	v_add_f64 v[95:96], v[95:96], v[103:104]
	v_add_f64 v[91:92], v[91:92], v[101:102]
	v_mul_f64 v[101:102], v[15:16], s[46:47]
	v_fma_f64 v[99:100], v[13:14], s[52:53], v[97:98]
	v_fma_f64 v[97:98], v[13:14], s[48:49], v[97:98]
	v_mul_f64 v[15:16], v[15:16], s[26:27]
	v_fma_f64 v[103:104], v[9:10], s[44:45], v[101:102]
	v_fma_f64 v[101:102], v[9:10], s[44:45], -v[101:102]
	v_add_f64 v[97:98], v[97:98], v[105:106]
	v_mul_f64 v[105:106], v[11:12], s[44:45]
	v_mul_f64 v[11:12], v[11:12], s[24:25]
	v_add_f64 v[99:100], v[99:100], v[107:108]
	v_add_f64 v[103:104], v[103:104], v[111:112]
	;; [unrolled: 1-line block ×3, first 2 shown]
	v_fma_f64 v[109:110], v[9:10], s[24:25], v[15:16]
	v_fma_f64 v[9:10], v[9:10], s[24:25], -v[15:16]
	v_add_f64 v[15:16], v[53:54], -v[79:80]
	v_fma_f64 v[107:108], v[13:14], s[42:43], v[105:106]
	v_fma_f64 v[105:106], v[13:14], s[46:47], v[105:106]
	;; [unrolled: 1-line block ×3, first 2 shown]
	v_add_f64 v[109:110], v[109:110], v[117:118]
	v_add_f64 v[1:2], v[9:10], v[1:2]
	v_fma_f64 v[9:10], v[13:14], s[26:27], v[11:12]
	v_add_f64 v[13:14], v[51:52], -v[27:28]
	v_add_f64 v[11:12], v[53:54], v[79:80]
	v_add_f64 v[105:106], v[105:106], v[113:114]
	v_add_f64 v[107:108], v[107:108], v[115:116]
	v_add_f64 v[111:112], v[111:112], v[119:120]
	v_add_f64 v[3:4], v[9:10], v[3:4]
	v_add_f64 v[9:10], v[51:52], v[27:28]
	v_mul_f64 v[27:28], v[15:16], s[36:37]
	v_mul_f64 v[79:80], v[11:12], s[56:57]
	v_fma_f64 v[51:52], v[9:10], s[38:39], v[27:28]
	v_fma_f64 v[27:28], v[9:10], s[38:39], -v[27:28]
	v_add_f64 v[21:22], v[51:52], v[21:22]
	v_mul_f64 v[51:52], v[11:12], s[38:39]
	v_add_f64 v[17:18], v[27:28], v[17:18]
	v_fma_f64 v[27:28], v[13:14], s[36:37], v[51:52]
	v_fma_f64 v[53:54], v[13:14], s[40:41], v[51:52]
	v_add_f64 v[19:20], v[27:28], v[19:20]
	v_mul_f64 v[27:28], v[15:16], s[52:53]
	v_add_f64 v[53:54], v[53:54], v[57:58]
	v_fma_f64 v[51:52], v[9:10], s[50:51], v[27:28]
	v_fma_f64 v[27:28], v[9:10], s[50:51], -v[27:28]
	v_add_f64 v[51:52], v[51:52], v[55:56]
	v_mul_f64 v[55:56], v[11:12], s[50:51]
	v_add_f64 v[23:24], v[27:28], v[23:24]
	v_fma_f64 v[57:58], v[13:14], s[48:49], v[55:56]
	v_fma_f64 v[27:28], v[13:14], s[52:53], v[55:56]
	v_mul_f64 v[55:56], v[15:16], s[26:27]
	v_add_f64 v[57:58], v[57:58], v[63:64]
	v_add_f64 v[27:28], v[27:28], v[59:60]
	v_fma_f64 v[59:60], v[9:10], s[24:25], v[55:56]
	v_mul_f64 v[63:64], v[11:12], s[24:25]
	v_fma_f64 v[55:56], v[9:10], s[24:25], -v[55:56]
	v_add_f64 v[59:60], v[59:60], v[65:66]
	v_fma_f64 v[65:66], v[13:14], s[22:23], v[63:64]
	v_add_f64 v[55:56], v[55:56], v[61:62]
	v_fma_f64 v[61:62], v[13:14], s[26:27], v[63:64]
	v_mul_f64 v[63:64], v[15:16], s[14:15]
	v_add_f64 v[65:66], v[65:66], v[72:73]
	v_mul_f64 v[72:73], v[11:12], s[16:17]
	v_add_f64 v[61:62], v[61:62], v[67:68]
	v_fma_f64 v[67:68], v[9:10], s[16:17], v[63:64]
	v_fma_f64 v[63:64], v[9:10], s[16:17], -v[63:64]
	v_add_f64 v[67:68], v[67:68], v[75:76]
	v_fma_f64 v[75:76], v[13:14], s[18:19], v[72:73]
	v_add_f64 v[63:64], v[63:64], v[70:71]
	v_fma_f64 v[70:71], v[13:14], s[14:15], v[72:73]
	v_mul_f64 v[72:73], v[15:16], s[54:55]
	v_add_f64 v[75:76], v[75:76], v[83:84]
	v_fma_f64 v[83:84], v[13:14], s[58:59], v[79:80]
	v_add_f64 v[70:71], v[70:71], v[77:78]
	v_fma_f64 v[77:78], v[9:10], s[56:57], v[72:73]
	v_fma_f64 v[72:73], v[9:10], s[56:57], -v[72:73]
	v_fma_f64 v[79:80], v[13:14], s[54:55], v[79:80]
	v_add_f64 v[83:84], v[83:84], v[93:94]
	v_add_f64 v[77:78], v[77:78], v[87:88]
	;; [unrolled: 1-line block ×3, first 2 shown]
	v_mul_f64 v[81:82], v[15:16], s[10:11]
	v_add_f64 v[79:80], v[79:80], v[89:90]
	v_mul_f64 v[89:90], v[11:12], s[6:7]
	v_fma_f64 v[87:88], v[9:10], s[6:7], v[81:82]
	v_fma_f64 v[81:82], v[9:10], s[6:7], -v[81:82]
	v_fma_f64 v[93:94], v[13:14], s[4:5], v[89:90]
	v_fma_f64 v[89:90], v[13:14], s[10:11], v[89:90]
	v_add_f64 v[87:88], v[87:88], v[95:96]
	v_add_f64 v[81:82], v[81:82], v[91:92]
	v_mul_f64 v[91:92], v[15:16], s[28:29]
	v_mul_f64 v[15:16], v[15:16], s[42:43]
	v_add_f64 v[89:90], v[89:90], v[97:98]
	v_mul_f64 v[97:98], v[11:12], s[30:31]
	v_mul_f64 v[11:12], v[11:12], s[44:45]
	v_add_f64 v[93:94], v[93:94], v[99:100]
	v_fma_f64 v[95:96], v[9:10], s[30:31], v[91:92]
	v_fma_f64 v[91:92], v[9:10], s[30:31], -v[91:92]
	v_fma_f64 v[99:100], v[13:14], s[34:35], v[97:98]
	v_fma_f64 v[97:98], v[13:14], s[28:29], v[97:98]
	v_add_f64 v[95:96], v[95:96], v[103:104]
	v_add_f64 v[91:92], v[91:92], v[101:102]
	v_fma_f64 v[101:102], v[9:10], s[44:45], v[15:16]
	v_fma_f64 v[9:10], v[9:10], s[44:45], -v[15:16]
	v_add_f64 v[15:16], v[49:50], -v[25:26]
	v_fma_f64 v[103:104], v[13:14], s[46:47], v[11:12]
	v_add_f64 v[97:98], v[97:98], v[105:106]
	v_add_f64 v[99:100], v[99:100], v[107:108]
	v_add_f64 v[105:106], v[37:38], v[45:46]
	v_add_f64 v[107:108], v[39:40], v[33:34]
	v_add_f64 v[101:102], v[101:102], v[109:110]
	v_add_f64 v[1:2], v[9:10], v[1:2]
	v_fma_f64 v[9:10], v[13:14], s[42:43], v[11:12]
	v_add_f64 v[11:12], v[49:50], v[25:26]
	v_mul_f64 v[25:26], v[15:16], s[42:43]
	v_add_f64 v[13:14], v[47:48], -v[31:32]
	v_add_f64 v[103:104], v[103:104], v[111:112]
	v_add_f64 v[109:110], v[37:38], -v[45:46]
	v_add_f64 v[37:38], v[39:40], -v[33:34]
	v_mul_f64 v[33:34], v[107:108], s[16:17]
	v_mul_f64 v[39:40], v[107:108], s[38:39]
	v_add_f64 v[3:4], v[9:10], v[3:4]
	v_add_f64 v[9:10], v[47:48], v[31:32]
	v_mul_f64 v[49:50], v[11:12], s[38:39]
	v_fma_f64 v[31:32], v[9:10], s[44:45], v[25:26]
	v_fma_f64 v[25:26], v[9:10], s[44:45], -v[25:26]
	v_add_f64 v[21:22], v[31:32], v[21:22]
	v_mul_f64 v[31:32], v[11:12], s[44:45]
	v_add_f64 v[17:18], v[25:26], v[17:18]
	v_fma_f64 v[25:26], v[13:14], s[42:43], v[31:32]
	v_fma_f64 v[47:48], v[13:14], s[46:47], v[31:32]
	v_add_f64 v[19:20], v[25:26], v[19:20]
	v_mul_f64 v[25:26], v[15:16], s[40:41]
	v_add_f64 v[47:48], v[47:48], v[53:54]
	v_mul_f64 v[53:54], v[11:12], s[30:31]
	v_fma_f64 v[31:32], v[9:10], s[38:39], v[25:26]
	v_fma_f64 v[25:26], v[9:10], s[38:39], -v[25:26]
	v_add_f64 v[31:32], v[31:32], v[51:52]
	v_add_f64 v[23:24], v[25:26], v[23:24]
	v_fma_f64 v[25:26], v[13:14], s[40:41], v[49:50]
	v_fma_f64 v[51:52], v[13:14], s[36:37], v[49:50]
	v_add_f64 v[25:26], v[25:26], v[27:28]
	v_mul_f64 v[27:28], v[15:16], s[28:29]
	v_add_f64 v[51:52], v[51:52], v[57:58]
	v_fma_f64 v[57:58], v[13:14], s[34:35], v[53:54]
	v_fma_f64 v[53:54], v[13:14], s[28:29], v[53:54]
	v_fma_f64 v[49:50], v[9:10], s[30:31], v[27:28]
	v_fma_f64 v[27:28], v[9:10], s[30:31], -v[27:28]
	v_add_f64 v[57:58], v[57:58], v[65:66]
	v_add_f64 v[53:54], v[53:54], v[61:62]
	v_mul_f64 v[61:62], v[11:12], s[50:51]
	v_add_f64 v[49:50], v[49:50], v[59:60]
	v_add_f64 v[27:28], v[27:28], v[55:56]
	v_mul_f64 v[55:56], v[15:16], s[48:49]
	v_fma_f64 v[65:66], v[13:14], s[52:53], v[61:62]
	v_fma_f64 v[61:62], v[13:14], s[48:49], v[61:62]
	v_fma_f64 v[59:60], v[9:10], s[50:51], v[55:56]
	v_fma_f64 v[55:56], v[9:10], s[50:51], -v[55:56]
	v_add_f64 v[65:66], v[65:66], v[75:76]
	v_add_f64 v[61:62], v[61:62], v[70:71]
	v_mul_f64 v[70:71], v[11:12], s[6:7]
	v_add_f64 v[59:60], v[59:60], v[67:68]
	v_add_f64 v[55:56], v[55:56], v[63:64]
	v_mul_f64 v[63:64], v[15:16], s[10:11]
	;; [unrolled: 10-line block ×3, first 2 shown]
	v_fma_f64 v[83:84], v[13:14], s[26:27], v[79:80]
	v_fma_f64 v[79:80], v[13:14], s[22:23], v[79:80]
	;; [unrolled: 1-line block ×3, first 2 shown]
	v_fma_f64 v[72:73], v[9:10], s[24:25], -v[72:73]
	v_add_f64 v[83:84], v[83:84], v[93:94]
	v_add_f64 v[79:80], v[79:80], v[89:90]
	v_mul_f64 v[89:90], v[11:12], s[56:57]
	v_mul_f64 v[11:12], v[11:12], s[16:17]
	v_add_f64 v[77:78], v[77:78], v[87:88]
	v_add_f64 v[72:73], v[72:73], v[81:82]
	v_mul_f64 v[81:82], v[15:16], s[54:55]
	v_mul_f64 v[15:16], v[15:16], s[18:19]
	v_fma_f64 v[93:94], v[13:14], s[58:59], v[89:90]
	v_fma_f64 v[89:90], v[13:14], s[54:55], v[89:90]
	;; [unrolled: 1-line block ×3, first 2 shown]
	v_fma_f64 v[81:82], v[9:10], s[56:57], -v[81:82]
	v_add_f64 v[93:94], v[93:94], v[99:100]
	v_add_f64 v[89:90], v[89:90], v[97:98]
	;; [unrolled: 1-line block ×4, first 2 shown]
	v_fma_f64 v[91:92], v[9:10], s[16:17], v[15:16]
	v_fma_f64 v[9:10], v[9:10], s[16:17], -v[15:16]
	v_add_f64 v[15:16], v[43:44], -v[29:30]
	v_fma_f64 v[95:96], v[13:14], s[14:15], v[11:12]
	v_add_f64 v[91:92], v[91:92], v[101:102]
	v_add_f64 v[1:2], v[9:10], v[1:2]
	v_fma_f64 v[9:10], v[13:14], s[18:19], v[11:12]
	v_add_f64 v[11:12], v[43:44], v[29:30]
	v_mul_f64 v[29:30], v[15:16], s[48:49]
	v_add_f64 v[13:14], v[41:42], -v[35:36]
	v_add_f64 v[95:96], v[95:96], v[103:104]
	v_add_f64 v[3:4], v[9:10], v[3:4]
	;; [unrolled: 1-line block ×3, first 2 shown]
	v_fma_f64 v[35:36], v[9:10], s[50:51], v[29:30]
	v_fma_f64 v[29:30], v[9:10], s[50:51], -v[29:30]
	v_add_f64 v[21:22], v[35:36], v[21:22]
	v_mul_f64 v[35:36], v[11:12], s[50:51]
	v_add_f64 v[17:18], v[29:30], v[17:18]
	v_fma_f64 v[29:30], v[13:14], s[48:49], v[35:36]
	v_fma_f64 v[41:42], v[13:14], s[52:53], v[35:36]
	v_add_f64 v[19:20], v[29:30], v[19:20]
	v_mul_f64 v[29:30], v[15:16], s[18:19]
	v_add_f64 v[41:42], v[41:42], v[47:48]
	v_mul_f64 v[47:48], v[11:12], s[6:7]
	v_fma_f64 v[35:36], v[9:10], s[16:17], v[29:30]
	v_fma_f64 v[29:30], v[9:10], s[16:17], -v[29:30]
	v_add_f64 v[31:32], v[35:36], v[31:32]
	v_mul_f64 v[35:36], v[11:12], s[16:17]
	v_add_f64 v[23:24], v[29:30], v[23:24]
	v_fma_f64 v[29:30], v[13:14], s[18:19], v[35:36]
	v_fma_f64 v[43:44], v[13:14], s[14:15], v[35:36]
	v_add_f64 v[25:26], v[29:30], v[25:26]
	v_mul_f64 v[29:30], v[15:16], s[4:5]
	v_add_f64 v[43:44], v[43:44], v[51:52]
	v_fma_f64 v[35:36], v[9:10], s[6:7], v[29:30]
	v_fma_f64 v[29:30], v[9:10], s[6:7], -v[29:30]
	v_add_f64 v[35:36], v[35:36], v[49:50]
	v_fma_f64 v[49:50], v[13:14], s[10:11], v[47:48]
	v_add_f64 v[27:28], v[29:30], v[27:28]
	v_fma_f64 v[29:30], v[13:14], s[4:5], v[47:48]
	v_mul_f64 v[47:48], v[15:16], s[46:47]
	v_add_f64 v[49:50], v[49:50], v[57:58]
	v_add_f64 v[29:30], v[29:30], v[53:54]
	v_fma_f64 v[51:52], v[9:10], s[44:45], v[47:48]
	v_fma_f64 v[47:48], v[9:10], s[44:45], -v[47:48]
	v_mul_f64 v[53:54], v[11:12], s[44:45]
	v_add_f64 v[51:52], v[51:52], v[59:60]
	v_add_f64 v[47:48], v[47:48], v[55:56]
	v_mul_f64 v[55:56], v[15:16], s[28:29]
	v_fma_f64 v[57:58], v[13:14], s[42:43], v[53:54]
	v_fma_f64 v[53:54], v[13:14], s[46:47], v[53:54]
	;; [unrolled: 1-line block ×3, first 2 shown]
	v_fma_f64 v[55:56], v[9:10], s[30:31], -v[55:56]
	v_add_f64 v[53:54], v[53:54], v[61:62]
	v_add_f64 v[57:58], v[57:58], v[65:66]
	;; [unrolled: 1-line block ×3, first 2 shown]
	v_mul_f64 v[59:60], v[11:12], s[30:31]
	v_add_f64 v[99:100], v[55:56], v[63:64]
	v_fma_f64 v[55:56], v[13:14], s[28:29], v[59:60]
	v_fma_f64 v[61:62], v[13:14], s[34:35], v[59:60]
	v_add_f64 v[101:102], v[55:56], v[70:71]
	v_mul_f64 v[55:56], v[15:16], s[54:55]
	v_add_f64 v[75:76], v[61:62], v[75:76]
	v_fma_f64 v[59:60], v[9:10], s[56:57], v[55:56]
	v_fma_f64 v[55:56], v[9:10], s[56:57], -v[55:56]
	v_add_f64 v[77:78], v[59:60], v[77:78]
	v_mul_f64 v[59:60], v[11:12], s[56:57]
	v_add_f64 v[103:104], v[55:56], v[72:73]
	v_fma_f64 v[55:56], v[13:14], s[54:55], v[59:60]
	v_fma_f64 v[61:62], v[13:14], s[58:59], v[59:60]
	v_add_f64 v[79:80], v[55:56], v[79:80]
	v_mul_f64 v[55:56], v[15:16], s[26:27]
	v_mul_f64 v[15:16], v[15:16], s[36:37]
	v_add_f64 v[83:84], v[61:62], v[83:84]
	v_fma_f64 v[59:60], v[9:10], s[24:25], v[55:56]
	v_fma_f64 v[55:56], v[9:10], s[24:25], -v[55:56]
	v_add_f64 v[87:88], v[59:60], v[87:88]
	v_mul_f64 v[59:60], v[11:12], s[24:25]
	v_add_f64 v[81:82], v[55:56], v[81:82]
	v_mul_f64 v[11:12], v[11:12], s[38:39]
	v_fma_f64 v[55:56], v[13:14], s[26:27], v[59:60]
	v_fma_f64 v[61:62], v[13:14], s[22:23], v[59:60]
	v_add_f64 v[89:90], v[55:56], v[89:90]
	v_fma_f64 v[55:56], v[9:10], s[38:39], v[15:16]
	v_fma_f64 v[9:10], v[9:10], s[38:39], -v[15:16]
	v_add_f64 v[93:94], v[61:62], v[93:94]
	v_add_f64 v[91:92], v[55:56], v[91:92]
	v_fma_f64 v[55:56], v[13:14], s[40:41], v[11:12]
	v_add_f64 v[1:2], v[9:10], v[1:2]
	v_fma_f64 v[9:10], v[13:14], s[36:37], v[11:12]
	v_mul_f64 v[11:12], v[37:38], s[54:55]
	v_mul_f64 v[13:14], v[107:108], s[56:57]
	v_add_f64 v[95:96], v[55:56], v[95:96]
	v_add_f64 v[3:4], v[9:10], v[3:4]
	v_fma_f64 v[9:10], v[105:106], s[56:57], v[11:12]
	v_fma_f64 v[15:16], v[109:110], s[58:59], v[13:14]
	v_fma_f64 v[11:12], v[105:106], s[56:57], -v[11:12]
	v_add_f64 v[9:10], v[9:10], v[21:22]
	v_add_f64 v[72:73], v[15:16], v[41:42]
	;; [unrolled: 1-line block ×3, first 2 shown]
	v_fma_f64 v[11:12], v[109:110], s[54:55], v[13:14]
	v_mul_f64 v[15:16], v[37:38], s[34:35]
	v_mul_f64 v[17:18], v[107:108], s[30:31]
	;; [unrolled: 1-line block ×4, first 2 shown]
	v_add_f64 v[65:66], v[11:12], v[19:20]
	v_fma_f64 v[11:12], v[105:106], s[30:31], v[15:16]
	v_fma_f64 v[15:16], v[105:106], s[30:31], -v[15:16]
	v_mul_f64 v[19:20], v[37:38], s[48:49]
	v_fma_f64 v[13:14], v[109:110], s[28:29], v[17:18]
	v_add_f64 v[11:12], v[11:12], v[31:32]
	v_add_f64 v[63:64], v[15:16], v[23:24]
	v_fma_f64 v[15:16], v[109:110], s[34:35], v[17:18]
	v_mul_f64 v[23:24], v[37:38], s[26:27]
	v_fma_f64 v[17:18], v[109:110], s[52:53], v[21:22]
	v_mul_f64 v[31:32], v[37:38], s[18:19]
	v_add_f64 v[13:14], v[13:14], v[43:44]
	v_add_f64 v[70:71], v[15:16], v[25:26]
	v_fma_f64 v[15:16], v[105:106], s[50:51], v[19:20]
	v_fma_f64 v[19:20], v[105:106], s[50:51], -v[19:20]
	v_mul_f64 v[25:26], v[107:108], s[24:25]
	v_add_f64 v[17:18], v[17:18], v[49:50]
	v_add_f64 v[15:16], v[15:16], v[35:36]
	;; [unrolled: 1-line block ×3, first 2 shown]
	v_fma_f64 v[19:20], v[109:110], s[48:49], v[21:22]
	v_fma_f64 v[21:22], v[109:110], s[22:23], v[25:26]
	v_mul_f64 v[27:28], v[37:38], s[42:43]
	v_mul_f64 v[35:36], v[37:38], s[36:37]
	v_add_f64 v[61:62], v[19:20], v[29:30]
	v_fma_f64 v[19:20], v[105:106], s[24:25], v[23:24]
	v_fma_f64 v[23:24], v[105:106], s[24:25], -v[23:24]
	v_add_f64 v[21:22], v[21:22], v[57:58]
	v_mul_f64 v[29:30], v[107:108], s[44:45]
	v_add_f64 v[19:20], v[19:20], v[51:52]
	v_add_f64 v[55:56], v[23:24], v[47:48]
	v_fma_f64 v[23:24], v[109:110], s[26:27], v[25:26]
	v_fma_f64 v[25:26], v[109:110], s[46:47], v[29:30]
	v_add_f64 v[57:58], v[23:24], v[53:54]
	v_fma_f64 v[23:24], v[105:106], s[44:45], v[27:28]
	v_fma_f64 v[27:28], v[105:106], s[44:45], -v[27:28]
	v_add_f64 v[25:26], v[25:26], v[75:76]
	v_mul_lo_u32 v76, v69, v74
	v_mov_b32_e32 v75, 4
	v_add_f64 v[23:24], v[23:24], v[97:98]
	v_add_f64 v[51:52], v[27:28], v[99:100]
	v_fma_f64 v[27:28], v[109:110], s[42:43], v[29:30]
	v_fma_f64 v[29:30], v[109:110], s[14:15], v[33:34]
	v_add_f64 v[53:54], v[27:28], v[101:102]
	v_fma_f64 v[27:28], v[105:106], s[16:17], v[31:32]
	v_fma_f64 v[31:32], v[105:106], s[16:17], -v[31:32]
	v_add_f64 v[29:30], v[29:30], v[83:84]
	v_add_f64 v[27:28], v[27:28], v[77:78]
	;; [unrolled: 1-line block ×3, first 2 shown]
	v_fma_f64 v[31:32], v[109:110], s[18:19], v[33:34]
	v_fma_f64 v[33:34], v[109:110], s[40:41], v[39:40]
	v_add_f64 v[49:50], v[31:32], v[79:80]
	v_fma_f64 v[31:32], v[105:106], s[38:39], v[35:36]
	v_fma_f64 v[35:36], v[105:106], s[38:39], -v[35:36]
	v_add_f64 v[33:34], v[33:34], v[93:94]
	v_add_f64 v[31:32], v[31:32], v[87:88]
	;; [unrolled: 1-line block ×3, first 2 shown]
	v_fma_f64 v[35:36], v[109:110], s[36:37], v[39:40]
	v_mul_f64 v[39:40], v[37:38], s[10:11]
	v_fma_f64 v[37:38], v[109:110], s[4:5], v[41:42]
	v_add_f64 v[45:46], v[35:36], v[89:90]
	v_fma_f64 v[35:36], v[105:106], s[6:7], v[39:40]
	v_fma_f64 v[39:40], v[105:106], s[6:7], -v[39:40]
	v_add_f64 v[37:38], v[37:38], v[95:96]
	v_add_f64 v[35:36], v[35:36], v[91:92]
	;; [unrolled: 1-line block ×3, first 2 shown]
	v_fma_f64 v[1:2], v[109:110], s[10:11], v[41:42]
	v_add_f64 v[41:42], v[1:2], v[3:4]
	v_lshlrev_b32_sdwa v1, v75, v76 dst_sel:DWORD dst_unused:UNUSED_PAD src0_sel:DWORD src1_sel:BYTE_0
	v_bfe_u32 v76, v76, 8, 8
	global_load_dwordx4 v[1:4], v1, s[12:13]
	v_lshl_or_b32 v76, v76, 4, 0x1000
	global_load_dwordx4 v[76:79], v76, s[12:13]
	s_waitcnt vmcnt(0)
	v_mul_f64 v[80:81], v[3:4], v[78:79]
	v_fma_f64 v[80:81], v[1:2], v[76:77], -v[80:81]
	v_mul_f64 v[1:2], v[1:2], v[78:79]
	v_fma_f64 v[3:4], v[3:4], v[76:77], v[1:2]
	v_mul_f64 v[1:2], v[7:8], v[3:4]
	v_mul_f64 v[3:4], v[5:6], v[3:4]
	v_fma_f64 v[1:2], v[5:6], v[80:81], v[1:2]
	v_add_nc_u32_e32 v5, 17, v74
	v_fma_f64 v[3:4], v[7:8], v[80:81], -v[3:4]
	v_mul_lo_u32 v76, v69, v5
	v_lshlrev_b32_sdwa v5, v75, v76 dst_sel:DWORD dst_unused:UNUSED_PAD src0_sel:DWORD src1_sel:BYTE_0
	v_bfe_u32 v76, v76, 8, 8
	global_load_dwordx4 v[5:8], v5, s[12:13]
	v_lshl_or_b32 v76, v76, 4, 0x1000
	global_load_dwordx4 v[76:79], v76, s[12:13]
	s_waitcnt vmcnt(0)
	v_mul_f64 v[80:81], v[7:8], v[78:79]
	v_fma_f64 v[80:81], v[5:6], v[76:77], -v[80:81]
	v_mul_f64 v[5:6], v[5:6], v[78:79]
	v_fma_f64 v[7:8], v[7:8], v[76:77], v[5:6]
	v_mul_f64 v[5:6], v[7:8], v[72:73]
	v_mul_f64 v[7:8], v[7:8], v[9:10]
	v_fma_f64 v[5:6], v[80:81], v[9:10], v[5:6]
	v_add_nc_u32_e32 v9, 34, v74
	v_fma_f64 v[7:8], v[80:81], v[72:73], -v[7:8]
	v_mul_lo_u32 v9, v69, v9
	v_lshlrev_b32_sdwa v10, v75, v9 dst_sel:DWORD dst_unused:UNUSED_PAD src0_sel:DWORD src1_sel:BYTE_0
	v_bfe_u32 v9, v9, 8, 8
	global_load_dwordx4 v[76:79], v10, s[12:13]
	v_lshl_or_b32 v9, v9, 4, 0x1000
	global_load_dwordx4 v[80:83], v9, s[12:13]
	s_waitcnt vmcnt(0)
	v_mul_f64 v[9:10], v[78:79], v[82:83]
	v_fma_f64 v[72:73], v[76:77], v[80:81], -v[9:10]
	v_mul_f64 v[9:10], v[76:77], v[82:83]
	v_fma_f64 v[76:77], v[78:79], v[80:81], v[9:10]
	v_mul_f64 v[9:10], v[13:14], v[76:77]
	v_fma_f64 v[9:10], v[11:12], v[72:73], v[9:10]
	v_mul_f64 v[11:12], v[11:12], v[76:77]
	v_fma_f64 v[11:12], v[13:14], v[72:73], -v[11:12]
	v_add_nc_u32_e32 v13, 51, v74
	v_mul_lo_u32 v13, v69, v13
	v_lshlrev_b32_sdwa v14, v75, v13 dst_sel:DWORD dst_unused:UNUSED_PAD src0_sel:DWORD src1_sel:BYTE_0
	v_bfe_u32 v13, v13, 8, 8
	global_load_dwordx4 v[76:79], v14, s[12:13]
	v_lshl_or_b32 v13, v13, 4, 0x1000
	global_load_dwordx4 v[80:83], v13, s[12:13]
	s_waitcnt vmcnt(0)
	v_mul_f64 v[13:14], v[78:79], v[82:83]
	v_fma_f64 v[72:73], v[76:77], v[80:81], -v[13:14]
	v_mul_f64 v[13:14], v[76:77], v[82:83]
	v_fma_f64 v[76:77], v[78:79], v[80:81], v[13:14]
	v_mul_f64 v[13:14], v[17:18], v[76:77]
	v_fma_f64 v[13:14], v[15:16], v[72:73], v[13:14]
	v_mul_f64 v[15:16], v[15:16], v[76:77]
	v_fma_f64 v[15:16], v[17:18], v[72:73], -v[15:16]
	v_add_nc_u32_e32 v17, 0x44, v74
	;; [unrolled: 16-line block ×14, first 2 shown]
	v_mul_lo_u32 v69, v69, v70
	v_lshlrev_b32_sdwa v70, v75, v69 dst_sel:DWORD dst_unused:UNUSED_PAD src0_sel:DWORD src1_sel:BYTE_0
	v_bfe_u32 v69, v69, 8, 8
	global_load_dwordx4 v[75:78], v70, s[12:13]
	v_lshl_or_b32 v69, v69, 4, 0x1000
	global_load_dwordx4 v[79:82], v69, s[12:13]
	s_waitcnt vmcnt(0)
	v_mul_f64 v[71:72], v[75:76], v[81:82]
	v_mul_f64 v[69:70], v[77:78], v[81:82]
	v_fma_f64 v[71:72], v[77:78], v[79:80], v[71:72]
	v_fma_f64 v[69:70], v[75:76], v[79:80], -v[69:70]
	v_mul_f64 v[75:76], v[65:66], v[71:72]
	v_fma_f64 v[75:76], v[67:68], v[69:70], v[75:76]
	v_mul_f64 v[67:68], v[67:68], v[71:72]
	v_fma_f64 v[77:78], v[65:66], v[69:70], -v[67:68]
	v_mul_lo_u32 v65, s8, v0
	v_add_lshl_u32 v65, v86, v65, 4
	v_cndmask_b32_e32 v65, -1, v65, vcc_lo
	buffer_store_dwordx4 v[1:4], v65, s[0:3], s9 offen
	v_add_nc_u32_e32 v1, 17, v0
	v_mul_lo_u32 v1, s8, v1
	v_add_lshl_u32 v1, v86, v1, 4
	v_cndmask_b32_e32 v1, -1, v1, vcc_lo
	buffer_store_dwordx4 v[5:8], v1, s[0:3], s9 offen
	v_add_nc_u32_e32 v1, 34, v0
	;; [unrolled: 5-line block ×15, first 2 shown]
	v_add_nc_u32_e32 v0, 0x110, v0
	v_mul_lo_u32 v1, s8, v1
	v_mul_lo_u32 v0, s8, v0
	v_add_lshl_u32 v1, v86, v1, 4
	v_add_lshl_u32 v0, v86, v0, 4
	v_cndmask_b32_e32 v1, -1, v1, vcc_lo
	v_cndmask_b32_e32 v0, -1, v0, vcc_lo
	buffer_store_dwordx4 v[61:64], v1, s[0:3], s9 offen
	buffer_store_dwordx4 v[75:78], v0, s[0:3], s9 offen
	s_endpgm
	.section	.rodata,"a",@progbits
	.p2align	6, 0x0
	.amdhsa_kernel fft_rtc_back_len289_factors_17_17_wgs_119_tpt_17_dp_ip_CI_sbcc_twdbase8_2step_dirReg_intrinsicReadWrite
		.amdhsa_group_segment_fixed_size 0
		.amdhsa_private_segment_fixed_size 0
		.amdhsa_kernarg_size 96
		.amdhsa_user_sgpr_count 6
		.amdhsa_user_sgpr_private_segment_buffer 1
		.amdhsa_user_sgpr_dispatch_ptr 0
		.amdhsa_user_sgpr_queue_ptr 0
		.amdhsa_user_sgpr_kernarg_segment_ptr 1
		.amdhsa_user_sgpr_dispatch_id 0
		.amdhsa_user_sgpr_flat_scratch_init 0
		.amdhsa_user_sgpr_private_segment_size 0
		.amdhsa_wavefront_size32 1
		.amdhsa_uses_dynamic_stack 0
		.amdhsa_system_sgpr_private_segment_wavefront_offset 0
		.amdhsa_system_sgpr_workgroup_id_x 1
		.amdhsa_system_sgpr_workgroup_id_y 0
		.amdhsa_system_sgpr_workgroup_id_z 0
		.amdhsa_system_sgpr_workgroup_info 0
		.amdhsa_system_vgpr_workitem_id 0
		.amdhsa_next_free_vgpr 137
		.amdhsa_next_free_sgpr 60
		.amdhsa_reserve_vcc 1
		.amdhsa_reserve_flat_scratch 0
		.amdhsa_float_round_mode_32 0
		.amdhsa_float_round_mode_16_64 0
		.amdhsa_float_denorm_mode_32 3
		.amdhsa_float_denorm_mode_16_64 3
		.amdhsa_dx10_clamp 1
		.amdhsa_ieee_mode 1
		.amdhsa_fp16_overflow 0
		.amdhsa_workgroup_processor_mode 1
		.amdhsa_memory_ordered 1
		.amdhsa_forward_progress 0
		.amdhsa_shared_vgpr_count 0
		.amdhsa_exception_fp_ieee_invalid_op 0
		.amdhsa_exception_fp_denorm_src 0
		.amdhsa_exception_fp_ieee_div_zero 0
		.amdhsa_exception_fp_ieee_overflow 0
		.amdhsa_exception_fp_ieee_underflow 0
		.amdhsa_exception_fp_ieee_inexact 0
		.amdhsa_exception_int_div_zero 0
	.end_amdhsa_kernel
	.text
.Lfunc_end0:
	.size	fft_rtc_back_len289_factors_17_17_wgs_119_tpt_17_dp_ip_CI_sbcc_twdbase8_2step_dirReg_intrinsicReadWrite, .Lfunc_end0-fft_rtc_back_len289_factors_17_17_wgs_119_tpt_17_dp_ip_CI_sbcc_twdbase8_2step_dirReg_intrinsicReadWrite
                                        ; -- End function
	.section	.AMDGPU.csdata,"",@progbits
; Kernel info:
; codeLenInByte = 17792
; NumSgprs: 62
; NumVgprs: 137
; ScratchSize: 0
; MemoryBound: 0
; FloatMode: 240
; IeeeMode: 1
; LDSByteSize: 0 bytes/workgroup (compile time only)
; SGPRBlocks: 7
; VGPRBlocks: 17
; NumSGPRsForWavesPerEU: 62
; NumVGPRsForWavesPerEU: 137
; Occupancy: 7
; WaveLimiterHint : 0
; COMPUTE_PGM_RSRC2:SCRATCH_EN: 0
; COMPUTE_PGM_RSRC2:USER_SGPR: 6
; COMPUTE_PGM_RSRC2:TRAP_HANDLER: 0
; COMPUTE_PGM_RSRC2:TGID_X_EN: 1
; COMPUTE_PGM_RSRC2:TGID_Y_EN: 0
; COMPUTE_PGM_RSRC2:TGID_Z_EN: 0
; COMPUTE_PGM_RSRC2:TIDIG_COMP_CNT: 0
	.text
	.p2alignl 6, 3214868480
	.fill 48, 4, 3214868480
	.type	__hip_cuid_29a4f7566ee2ab58,@object ; @__hip_cuid_29a4f7566ee2ab58
	.section	.bss,"aw",@nobits
	.globl	__hip_cuid_29a4f7566ee2ab58
__hip_cuid_29a4f7566ee2ab58:
	.byte	0                               ; 0x0
	.size	__hip_cuid_29a4f7566ee2ab58, 1

	.ident	"AMD clang version 19.0.0git (https://github.com/RadeonOpenCompute/llvm-project roc-6.4.0 25133 c7fe45cf4b819c5991fe208aaa96edf142730f1d)"
	.section	".note.GNU-stack","",@progbits
	.addrsig
	.addrsig_sym __hip_cuid_29a4f7566ee2ab58
	.amdgpu_metadata
---
amdhsa.kernels:
  - .args:
      - .actual_access:  read_only
        .address_space:  global
        .offset:         0
        .size:           8
        .value_kind:     global_buffer
      - .address_space:  global
        .offset:         8
        .size:           8
        .value_kind:     global_buffer
      - .offset:         16
        .size:           8
        .value_kind:     by_value
      - .actual_access:  read_only
        .address_space:  global
        .offset:         24
        .size:           8
        .value_kind:     global_buffer
      - .actual_access:  read_only
        .address_space:  global
        .offset:         32
        .size:           8
        .value_kind:     global_buffer
      - .offset:         40
        .size:           8
        .value_kind:     by_value
      - .actual_access:  read_only
        .address_space:  global
        .offset:         48
        .size:           8
        .value_kind:     global_buffer
      - .actual_access:  read_only
        .address_space:  global
        .offset:         56
        .size:           8
        .value_kind:     global_buffer
      - .offset:         64
        .size:           4
        .value_kind:     by_value
      - .actual_access:  read_only
        .address_space:  global
        .offset:         72
        .size:           8
        .value_kind:     global_buffer
      - .actual_access:  read_only
        .address_space:  global
        .offset:         80
        .size:           8
        .value_kind:     global_buffer
      - .address_space:  global
        .offset:         88
        .size:           8
        .value_kind:     global_buffer
    .group_segment_fixed_size: 0
    .kernarg_segment_align: 8
    .kernarg_segment_size: 96
    .language:       OpenCL C
    .language_version:
      - 2
      - 0
    .max_flat_workgroup_size: 119
    .name:           fft_rtc_back_len289_factors_17_17_wgs_119_tpt_17_dp_ip_CI_sbcc_twdbase8_2step_dirReg_intrinsicReadWrite
    .private_segment_fixed_size: 0
    .sgpr_count:     62
    .sgpr_spill_count: 0
    .symbol:         fft_rtc_back_len289_factors_17_17_wgs_119_tpt_17_dp_ip_CI_sbcc_twdbase8_2step_dirReg_intrinsicReadWrite.kd
    .uniform_work_group_size: 1
    .uses_dynamic_stack: false
    .vgpr_count:     137
    .vgpr_spill_count: 0
    .wavefront_size: 32
    .workgroup_processor_mode: 1
amdhsa.target:   amdgcn-amd-amdhsa--gfx1030
amdhsa.version:
  - 1
  - 2
...

	.end_amdgpu_metadata
